;; amdgpu-corpus repo=ROCm/rocFFT kind=compiled arch=gfx1030 opt=O3
	.text
	.amdgcn_target "amdgcn-amd-amdhsa--gfx1030"
	.amdhsa_code_object_version 6
	.protected	bluestein_single_back_len1440_dim1_dp_op_CI_CI ; -- Begin function bluestein_single_back_len1440_dim1_dp_op_CI_CI
	.globl	bluestein_single_back_len1440_dim1_dp_op_CI_CI
	.p2align	8
	.type	bluestein_single_back_len1440_dim1_dp_op_CI_CI,@function
bluestein_single_back_len1440_dim1_dp_op_CI_CI: ; @bluestein_single_back_len1440_dim1_dp_op_CI_CI
; %bb.0:
	s_load_dwordx4 s[12:15], s[4:5], 0x28
	v_mul_u32_u24_e32 v1, 0x2d9, v0
	s_mov_b64 s[26:27], s[2:3]
	s_mov_b64 s[24:25], s[0:1]
	v_mov_b32_e32 v8, 0
	s_add_u32 s24, s24, s7
	v_lshrrev_b32_e32 v1, 16, v1
	s_addc_u32 s25, s25, 0
	s_mov_b32 s0, exec_lo
	v_add_nc_u32_e32 v7, s6, v1
	s_waitcnt lgkmcnt(0)
	v_cmpx_gt_u64_e64 s[12:13], v[7:8]
	s_cbranch_execz .LBB0_31
; %bb.1:
	s_clause 0x1
	s_load_dwordx4 s[8:11], s[4:5], 0x18
	s_load_dwordx2 s[12:13], s[4:5], 0x0
	v_mul_lo_u16 v1, 0x5a, v1
	v_mov_b32_e32 v8, v7
	v_sub_nc_u16 v2, v0, v1
	v_and_b32_e32 v22, 0xffff, v2
	v_lshlrev_b32_e32 v100, 4, v22
	v_or_b32_e32 v17, 0x480, v22
	s_waitcnt lgkmcnt(0)
	s_load_dwordx4 s[0:3], s[8:9], 0x0
	v_add_co_u32 v20, s6, s12, v100
	v_add_co_ci_u32_e64 v21, null, s13, 0, s6
	global_load_dwordx4 v[91:94], v100, s[12:13]
	v_add_co_u32 v13, vcc_lo, 0x800, v20
	v_add_co_ci_u32_e32 v14, vcc_lo, 0, v21, vcc_lo
	v_add_co_u32 v29, vcc_lo, 0x1000, v20
	v_add_co_ci_u32_e32 v30, vcc_lo, 0, v21, vcc_lo
	v_add_co_u32 v5, vcc_lo, 0x1800, v20
	v_add_co_ci_u32_e32 v6, vcc_lo, 0, v21, vcc_lo
	buffer_store_dword v8, off, s[24:27], 0 offset:32 ; 4-byte Folded Spill
	buffer_store_dword v9, off, s[24:27], 0 offset:36 ; 4-byte Folded Spill
	;; [unrolled: 1-line block ×3, first 2 shown]
	s_waitcnt lgkmcnt(0)
	v_mad_u64_u32 v[0:1], null, s2, v7, 0
	global_load_dwordx4 v[117:120], v[5:6], off offset:768
	buffer_store_dword v13, off, s[24:27], 0 offset:56 ; 4-byte Folded Spill
	buffer_store_dword v14, off, s[24:27], 0 offset:60 ; 4-byte Folded Spill
	v_mad_u64_u32 v[3:4], null, s0, v22, 0
	v_add_co_u32 v25, vcc_lo, 0x2000, v20
	v_mad_u64_u32 v[7:8], null, s3, v7, v[1:2]
	v_add_co_ci_u32_e32 v26, vcc_lo, 0, v21, vcc_lo
	v_mov_b32_e32 v1, v4
	v_add_co_u32 v41, vcc_lo, 0x2800, v20
	v_add_co_ci_u32_e32 v42, vcc_lo, 0, v21, vcc_lo
	v_mad_u64_u32 v[8:9], null, s1, v22, v[1:2]
	v_mov_b32_e32 v1, v7
	s_mul_i32 s3, s1, 0x90
	s_mul_hi_u32 s6, s0, 0x90
	s_mul_i32 s2, s0, 0x90
	s_add_i32 s3, s6, s3
	v_lshlrev_b64 v[0:1], 4, v[0:1]
	v_mov_b32_e32 v4, v8
	s_lshl_b64 s[2:3], s[2:3], 4
	v_mad_u64_u32 v[7:8], null, s0, v17, 0
	v_lshlrev_b32_e32 v250, 4, v17
	v_lshlrev_b64 v[3:4], 4, v[3:4]
	v_add_co_u32 v9, vcc_lo, s14, v0
	v_add_co_ci_u32_e32 v10, vcc_lo, s15, v1, vcc_lo
	v_mov_b32_e32 v0, v8
	v_add_co_u32 v3, vcc_lo, v9, v3
	v_add_co_ci_u32_e32 v4, vcc_lo, v10, v4, vcc_lo
	v_mad_u64_u32 v[0:1], null, s1, v17, v[0:1]
	v_add_co_u32 v11, vcc_lo, v3, s2
	v_add_co_ci_u32_e32 v12, vcc_lo, s3, v4, vcc_lo
	v_add_co_u32 v33, vcc_lo, 0x3000, v20
	v_add_co_ci_u32_e32 v34, vcc_lo, 0, v21, vcc_lo
	;; [unrolled: 2-line block ×3, first 2 shown]
	v_mov_b32_e32 v8, v0
	v_add_co_u32 v23, vcc_lo, v15, s2
	v_add_co_ci_u32_e32 v24, vcc_lo, s3, v16, vcc_lo
	v_lshlrev_b64 v[7:8], 4, v[7:8]
	v_add_co_u32 v27, vcc_lo, v23, s2
	v_add_co_ci_u32_e32 v28, vcc_lo, s3, v24, vcc_lo
	v_add_co_u32 v45, vcc_lo, 0x3800, v20
	v_add_co_ci_u32_e32 v46, vcc_lo, 0, v21, vcc_lo
	v_add_co_u32 v31, vcc_lo, v27, s2
	v_add_co_ci_u32_e32 v32, vcc_lo, s3, v28, vcc_lo
	s_mov_b32 s14, 0
	v_add_co_u32 v35, vcc_lo, v31, s2
	v_add_co_ci_u32_e32 v36, vcc_lo, s3, v32, vcc_lo
	v_add_co_u32 v39, vcc_lo, v35, s2
	v_add_co_ci_u32_e32 v40, vcc_lo, s3, v36, vcc_lo
	;; [unrolled: 2-line block ×4, first 2 shown]
	v_mad_u64_u32 v[0:1], null, 0x1200, s0, v[39:40]
	v_cmp_gt_u16_e32 vcc_lo, 54, v2
	s_clause 0x1
	global_load_dwordx4 v[121:124], v[13:14], off offset:256
	global_load_dwordx4 v[87:90], v250, s[12:13]
	s_clause 0x3
	global_load_dwordx4 v[3:6], v[3:4], off
	global_load_dwordx4 v[7:10], v[7:8], off
	;; [unrolled: 1-line block ×4, first 2 shown]
	buffer_store_dword v29, off, s[24:27], 0 offset:48 ; 4-byte Folded Spill
	buffer_store_dword v30, off, s[24:27], 0 offset:52 ; 4-byte Folded Spill
	v_mad_u64_u32 v[37:38], null, 0x1200, s1, v[1:2]
	v_mov_b32_e32 v1, v37
	s_waitcnt vmcnt(3)
	v_mul_f64 v[47:48], v[5:6], v[93:94]
	s_waitcnt vmcnt(2)
	v_mul_f64 v[51:52], v[9:10], v[89:90]
	;; [unrolled: 2-line block ×3, first 2 shown]
	global_load_dwordx4 v[125:128], v[29:30], off offset:512
	buffer_store_dword v25, off, s[24:27], 0 offset:40 ; 4-byte Folded Spill
	buffer_store_dword v26, off, s[24:27], 0 offset:44 ; 4-byte Folded Spill
	v_mul_f64 v[49:50], v[3:4], v[93:94]
	v_mul_f64 v[53:54], v[7:8], v[89:90]
	;; [unrolled: 1-line block ×3, first 2 shown]
	global_load_dwordx4 v[113:116], v[25:26], off offset:1024
	s_clause 0x1
	global_load_dwordx4 v[23:26], v[23:24], off
	global_load_dwordx4 v[27:30], v[27:28], off
	buffer_store_dword v41, off, s[24:27], 0 offset:24 ; 4-byte Folded Spill
	buffer_store_dword v42, off, s[24:27], 0 offset:28 ; 4-byte Folded Spill
	s_waitcnt vmcnt(3)
	v_mul_f64 v[59:60], v[17:18], v[127:128]
	v_mul_f64 v[61:62], v[15:16], v[127:128]
	v_fma_f64 v[3:4], v[3:4], v[91:92], v[47:48]
	v_fma_f64 v[7:8], v[7:8], v[87:88], v[51:52]
	;; [unrolled: 1-line block ×4, first 2 shown]
	s_waitcnt vmcnt(1)
	v_mul_f64 v[63:64], v[25:26], v[119:120]
	global_load_dwordx4 v[109:112], v[41:42], off offset:1280
	buffer_store_dword v33, off, s[24:27], 0 offset:16 ; 4-byte Folded Spill
	buffer_store_dword v34, off, s[24:27], 0 offset:20 ; 4-byte Folded Spill
	v_mul_f64 v[65:66], v[23:24], v[119:120]
	s_waitcnt vmcnt(1)
	v_mul_f64 v[67:68], v[29:30], v[115:116]
	v_mul_f64 v[69:70], v[27:28], v[115:116]
	global_load_dwordx4 v[105:108], v[33:34], off offset:1536
	global_load_dwordx4 v[31:34], v[31:32], off
	global_load_dwordx4 v[35:38], v[35:36], off
	;; [unrolled: 1-line block ×3, first 2 shown]
	buffer_store_dword v45, off, s[24:27], 0 offset:8 ; 4-byte Folded Spill
	buffer_store_dword v46, off, s[24:27], 0 offset:12 ; 4-byte Folded Spill
	v_fma_f64 v[47:48], v[23:24], v[117:118], v[63:64]
	v_mov_b32_e32 v23, s14
	s_waitcnt vmcnt(1)
	v_mul_f64 v[75:76], v[37:38], v[107:108]
	global_load_dwordx4 v[101:104], v[45:46], off offset:1792
	buffer_store_dword v43, off, s[24:27], 0 ; 4-byte Folded Spill
	buffer_store_dword v44, off, s[24:27], 0 offset:4 ; 4-byte Folded Spill
	v_mul_f64 v[71:72], v[33:34], v[111:112]
	v_mul_f64 v[73:74], v[31:32], v[111:112]
	;; [unrolled: 1-line block ×3, first 2 shown]
	global_load_dwordx4 v[95:98], v[43:44], off offset:256
	global_load_dwordx4 v[43:46], v[0:1], off
	buffer_store_dword v91, off, s[24:27], 0 offset:84 ; 4-byte Folded Spill
	buffer_store_dword v92, off, s[24:27], 0 offset:88 ; 4-byte Folded Spill
	buffer_store_dword v93, off, s[24:27], 0 offset:92 ; 4-byte Folded Spill
	buffer_store_dword v94, off, s[24:27], 0 offset:96 ; 4-byte Folded Spill
	buffer_store_dword v87, off, s[24:27], 0 offset:68 ; 4-byte Folded Spill
	buffer_store_dword v88, off, s[24:27], 0 offset:72 ; 4-byte Folded Spill
	buffer_store_dword v89, off, s[24:27], 0 offset:76 ; 4-byte Folded Spill
	buffer_store_dword v90, off, s[24:27], 0 offset:80 ; 4-byte Folded Spill
	buffer_store_dword v121, off, s[24:27], 0 offset:196 ; 4-byte Folded Spill
	buffer_store_dword v122, off, s[24:27], 0 offset:200 ; 4-byte Folded Spill
	buffer_store_dword v123, off, s[24:27], 0 offset:204 ; 4-byte Folded Spill
	buffer_store_dword v124, off, s[24:27], 0 offset:208 ; 4-byte Folded Spill
	buffer_store_dword v125, off, s[24:27], 0 offset:212 ; 4-byte Folded Spill
	buffer_store_dword v126, off, s[24:27], 0 offset:216 ; 4-byte Folded Spill
	buffer_store_dword v127, off, s[24:27], 0 offset:220 ; 4-byte Folded Spill
	buffer_store_dword v128, off, s[24:27], 0 offset:224 ; 4-byte Folded Spill
	buffer_store_dword v117, off, s[24:27], 0 offset:180 ; 4-byte Folded Spill
	buffer_store_dword v118, off, s[24:27], 0 offset:184 ; 4-byte Folded Spill
	buffer_store_dword v119, off, s[24:27], 0 offset:188 ; 4-byte Folded Spill
	buffer_store_dword v120, off, s[24:27], 0 offset:192 ; 4-byte Folded Spill
	s_waitcnt vmcnt(2)
	v_mul_f64 v[79:80], v[41:42], v[103:104]
	v_mul_f64 v[81:82], v[39:40], v[103:104]
	v_fma_f64 v[5:6], v[5:6], v[91:92], -v[49:50]
	v_fma_f64 v[9:10], v[9:10], v[87:88], -v[53:54]
	s_waitcnt vmcnt(0)
	v_mul_f64 v[83:84], v[45:46], v[97:98]
	v_mul_f64 v[85:86], v[43:44], v[97:98]
	v_fma_f64 v[49:50], v[25:26], v[117:118], -v[65:66]
	v_fma_f64 v[24:25], v[27:28], v[113:114], v[67:68]
	buffer_store_dword v113, off, s[24:27], 0 offset:164 ; 4-byte Folded Spill
	buffer_store_dword v114, off, s[24:27], 0 offset:168 ; 4-byte Folded Spill
	;; [unrolled: 1-line block ×4, first 2 shown]
	v_fma_f64 v[13:14], v[13:14], v[121:122], -v[57:58]
	v_fma_f64 v[17:18], v[17:18], v[125:126], -v[61:62]
	;; [unrolled: 1-line block ×3, first 2 shown]
	v_fma_f64 v[28:29], v[31:32], v[109:110], v[71:72]
	buffer_store_dword v109, off, s[24:27], 0 offset:148 ; 4-byte Folded Spill
	buffer_store_dword v110, off, s[24:27], 0 offset:152 ; 4-byte Folded Spill
	buffer_store_dword v111, off, s[24:27], 0 offset:156 ; 4-byte Folded Spill
	buffer_store_dword v112, off, s[24:27], 0 offset:160 ; 4-byte Folded Spill
	v_fma_f64 v[30:31], v[33:34], v[109:110], -v[73:74]
	v_fma_f64 v[32:33], v[35:36], v[105:106], v[75:76]
	buffer_store_dword v105, off, s[24:27], 0 offset:132 ; 4-byte Folded Spill
	buffer_store_dword v106, off, s[24:27], 0 offset:136 ; 4-byte Folded Spill
	buffer_store_dword v107, off, s[24:27], 0 offset:140 ; 4-byte Folded Spill
	buffer_store_dword v108, off, s[24:27], 0 offset:144 ; 4-byte Folded Spill
	v_fma_f64 v[34:35], v[37:38], v[105:106], -v[77:78]
	;; [unrolled: 6-line block ×3, first 2 shown]
	v_fma_f64 v[40:41], v[43:44], v[95:96], v[83:84]
	buffer_store_dword v95, off, s[24:27], 0 offset:100 ; 4-byte Folded Spill
	buffer_store_dword v96, off, s[24:27], 0 offset:104 ; 4-byte Folded Spill
	;; [unrolled: 1-line block ×4, first 2 shown]
	s_load_dwordx2 s[6:7], s[4:5], 0x38
	s_load_dwordx4 s[8:11], s[10:11], 0x0
	ds_write_b128 v100, v[3:6]
	ds_write_b128 v100, v[11:14] offset:2304
	ds_write_b128 v100, v[15:18] offset:4608
	;; [unrolled: 1-line block ×5, first 2 shown]
	v_fma_f64 v[42:43], v[45:46], v[95:96], -v[85:86]
	ds_write_b128 v100, v[32:35] offset:13824
	ds_write_b128 v100, v[36:39] offset:16128
	;; [unrolled: 1-line block ×4, first 2 shown]
	s_and_saveexec_b32 s14, vcc_lo
	s_cbranch_execz .LBB0_3
; %bb.2:
	v_mad_u64_u32 v[32:33], null, 0xffffb4a0, s0, v[0:1]
	global_load_dwordx4 v[0:3], v[20:21], off offset:1440
	s_clause 0x1
	buffer_load_dword v4, off, s[24:27], 0 offset:56
	buffer_load_dword v5, off, s[24:27], 0 offset:60
	s_mulk_i32 s1, 0xb4a0
	s_sub_i32 s0, s1, s0
	v_add_nc_u32_e32 v33, s0, v33
	v_add_co_u32 v36, s0, v32, s2
	v_add_co_ci_u32_e64 v37, s0, s3, v33, s0
	v_add_co_u32 v40, s0, v36, s2
	v_add_co_ci_u32_e64 v41, s0, s3, v37, s0
	;; [unrolled: 2-line block ×11, first 2 shown]
	s_waitcnt vmcnt(0)
	global_load_dwordx4 v[4:7], v[4:5], off offset:1696
	s_clause 0x1
	buffer_load_dword v8, off, s[24:27], 0 offset:48
	buffer_load_dword v9, off, s[24:27], 0 offset:52
	s_waitcnt vmcnt(0)
	global_load_dwordx4 v[8:11], v[8:9], off offset:1952
	s_clause 0x1
	buffer_load_dword v12, off, s[24:27], 0 offset:40
	buffer_load_dword v13, off, s[24:27], 0 offset:44
	;; [unrolled: 5-line block ×5, first 2 shown]
	global_load_dwordx4 v[32:35], v[32:33], off
	global_load_dwordx4 v[36:39], v[36:37], off
	;; [unrolled: 1-line block ×3, first 2 shown]
	s_waitcnt vmcnt(3)
	global_load_dwordx4 v[28:31], v[28:29], off offset:928
	global_load_dwordx4 v[44:47], v[44:45], off
	global_load_dwordx4 v[48:51], v[48:49], off
	;; [unrolled: 1-line block ×5, first 2 shown]
	global_load_dwordx4 v[64:67], v[66:67], off offset:1184
	global_load_dwordx4 v[68:71], v[68:69], off
	global_load_dwordx4 v[72:75], v[72:73], off offset:1440
	s_clause 0x1
	buffer_load_dword v76, off, s[24:27], 0
	buffer_load_dword v77, off, s[24:27], 0 offset:4
	s_waitcnt vmcnt(13)
	v_mul_f64 v[84:85], v[34:35], v[2:3]
	v_mul_f64 v[2:3], v[32:33], v[2:3]
	s_waitcnt vmcnt(12)
	v_mul_f64 v[86:87], v[38:39], v[6:7]
	v_mul_f64 v[6:7], v[36:37], v[6:7]
	s_waitcnt vmcnt(11)
	v_mul_f64 v[88:89], v[42:43], v[10:11]
	v_mul_f64 v[10:11], v[40:41], v[10:11]
	s_waitcnt vmcnt(0)
	global_load_dwordx4 v[76:79], v[76:77], off offset:1696
	global_load_dwordx4 v[80:83], v[80:81], off
	v_mul_f64 v[90:91], v[46:47], v[14:15]
	v_mul_f64 v[14:15], v[44:45], v[14:15]
	;; [unrolled: 1-line block ×12, first 2 shown]
	v_fma_f64 v[30:31], v[32:33], v[0:1], v[84:85]
	v_fma_f64 v[32:33], v[34:35], v[0:1], -v[2:3]
	v_fma_f64 v[0:1], v[36:37], v[4:5], v[86:87]
	v_fma_f64 v[2:3], v[38:39], v[4:5], -v[6:7]
	;; [unrolled: 2-line block ×9, first 2 shown]
	s_waitcnt vmcnt(0)
	v_mul_f64 v[105:106], v[82:83], v[78:79]
	v_mul_f64 v[78:79], v[80:81], v[78:79]
	v_fma_f64 v[42:43], v[80:81], v[76:77], v[105:106]
	v_fma_f64 v[44:45], v[82:83], v[76:77], -v[78:79]
	ds_write_b128 v100, v[30:33] offset:1440
	ds_write_b128 v100, v[0:3] offset:3744
	;; [unrolled: 1-line block ×10, first 2 shown]
.LBB0_3:
	s_or_b32 exec_lo, exec_lo, s14
	s_waitcnt lgkmcnt(0)
	s_waitcnt_vscnt null, 0x0
	s_barrier
	buffer_gl0_inv
	ds_read_b128 v[84:87], v100
	ds_read_b128 v[88:91], v100 offset:2304
	ds_read_b128 v[96:99], v100 offset:4608
	;; [unrolled: 1-line block ×9, first 2 shown]
                                        ; implicit-def: $vgpr60_vgpr61
                                        ; implicit-def: $vgpr64_vgpr65
                                        ; implicit-def: $vgpr76_vgpr77
                                        ; implicit-def: $vgpr0_vgpr1
                                        ; implicit-def: $vgpr4_vgpr5
                                        ; implicit-def: $vgpr56_vgpr57
                                        ; implicit-def: $vgpr52_vgpr53
                                        ; implicit-def: $vgpr48_vgpr49
                                        ; implicit-def: $vgpr44_vgpr45
                                        ; implicit-def: $vgpr40_vgpr41
	s_and_saveexec_b32 s0, vcc_lo
	s_cbranch_execz .LBB0_5
; %bb.4:
	ds_read_b128 v[40:43], v100 offset:1440
	ds_read_b128 v[44:47], v100 offset:3744
	;; [unrolled: 1-line block ×10, first 2 shown]
.LBB0_5:
	s_or_b32 exec_lo, exec_lo, s0
	s_waitcnt lgkmcnt(2)
	v_add_f64 v[24:25], v[80:81], v[16:17]
	s_waitcnt lgkmcnt(0)
	v_add_f64 v[26:27], v[94:95], v[70:71]
	v_add_f64 v[28:29], v[92:93], v[68:69]
	v_add_f64 v[103:104], v[94:95], -v[70:71]
	v_add_f64 v[107:108], v[82:83], v[18:19]
	v_add_f64 v[109:110], v[80:81], -v[16:17]
	s_mov_b32 s0, 0x134454ff
	s_mov_b32 s1, 0x3fee6f0e
	v_add_f64 v[30:31], v[84:85], v[96:97]
	v_add_f64 v[32:33], v[72:73], v[12:13]
	v_add_f64 v[105:106], v[82:83], -v[18:19]
	v_add_f64 v[111:112], v[96:97], v[8:9]
	v_add_f64 v[127:128], v[92:93], -v[80:81]
	v_add_f64 v[129:130], v[68:69], -v[16:17]
	;; [unrolled: 1-line block ×7, first 2 shown]
	s_mov_b32 s16, 0x4755a5e
	s_mov_b32 s17, 0x3fe2cf23
	;; [unrolled: 1-line block ×3, first 2 shown]
	v_fma_f64 v[24:25], v[24:25], -0.5, v[88:89]
	v_fma_f64 v[26:27], v[26:27], -0.5, v[90:91]
	v_fma_f64 v[28:29], v[28:29], -0.5, v[88:89]
	v_add_f64 v[88:89], v[88:89], v[92:93]
	v_fma_f64 v[107:108], v[107:108], -0.5, v[90:91]
	s_mov_b32 s19, 0xbfe2cf23
	s_mov_b32 s14, s0
	;; [unrolled: 1-line block ×3, first 2 shown]
	v_add_f64 v[34:35], v[98:99], -v[10:11]
	v_add_f64 v[36:37], v[74:75], -v[14:15]
	v_add_f64 v[117:118], v[86:87], v[98:99]
	v_add_f64 v[119:120], v[74:75], v[14:15]
	;; [unrolled: 1-line block ×4, first 2 shown]
	v_add_f64 v[92:93], v[94:95], -v[82:83]
	v_add_f64 v[94:95], v[70:71], -v[18:19]
	v_fma_f64 v[32:33], v[32:33], -0.5, v[84:85]
	v_fma_f64 v[84:85], v[111:112], -0.5, v[84:85]
	v_add_f64 v[111:112], v[127:128], v[129:130]
	v_add_f64 v[127:128], v[131:132], v[133:134]
	;; [unrolled: 1-line block ×4, first 2 shown]
	v_fma_f64 v[143:144], v[103:104], s[0:1], v[24:25]
	v_fma_f64 v[145:146], v[109:110], s[0:1], v[26:27]
	v_fma_f64 v[147:148], v[105:106], s[0:1], v[28:29]
	v_fma_f64 v[28:29], v[105:106], s[14:15], v[28:29]
	v_fma_f64 v[131:132], v[139:140], s[14:15], v[107:108]
	v_add_f64 v[80:81], v[88:89], v[80:81]
	v_fma_f64 v[24:25], v[103:104], s[14:15], v[24:25]
	s_mov_b32 s2, 0x372fe950
	s_mov_b32 s3, 0x3fd3c6ef
	v_add_f64 v[38:39], v[96:97], -v[72:73]
	v_add_f64 v[101:102], v[8:9], -v[12:13]
	;; [unrolled: 1-line block ×8, first 2 shown]
	v_fma_f64 v[26:27], v[109:110], s[14:15], v[26:27]
	v_fma_f64 v[119:120], v[119:120], -0.5, v[86:87]
	v_fma_f64 v[86:87], v[141:142], -0.5, v[86:87]
	v_add_f64 v[88:89], v[92:93], v[94:95]
	v_fma_f64 v[94:95], v[36:37], s[14:15], v[84:85]
	v_fma_f64 v[133:134], v[105:106], s[16:17], v[143:144]
	v_fma_f64 v[135:136], v[139:140], s[18:19], v[145:146]
	v_fma_f64 v[137:138], v[103:104], s[18:19], v[147:148]
	v_fma_f64 v[84:85], v[36:37], s[0:1], v[84:85]
	v_fma_f64 v[28:29], v[103:104], s[16:17], v[28:29]
	v_fma_f64 v[103:104], v[109:110], s[18:19], v[131:132]
	v_add_f64 v[74:75], v[117:118], v[74:75]
	v_add_f64 v[12:13], v[30:31], v[12:13]
	v_fma_f64 v[30:31], v[34:35], s[14:15], v[32:33]
	v_add_f64 v[16:17], v[80:81], v[16:17]
	v_fma_f64 v[80:81], v[139:140], s[0:1], v[107:108]
	v_fma_f64 v[24:25], v[105:106], s[18:19], v[24:25]
	v_add_f64 v[125:126], v[10:11], -v[14:15]
	v_add_f64 v[149:150], v[14:15], -v[10:11]
	v_add_f64 v[153:154], v[60:61], v[76:77]
	v_fma_f64 v[92:93], v[34:35], s[0:1], v[32:33]
	v_add_f64 v[38:39], v[38:39], v[101:102]
	v_fma_f64 v[26:27], v[139:140], s[16:17], v[26:27]
	v_add_f64 v[101:102], v[113:114], v[115:116]
	v_add_f64 v[82:83], v[90:91], v[82:83]
	v_fma_f64 v[32:33], v[96:97], s[14:15], v[119:120]
	v_fma_f64 v[90:91], v[96:97], s[0:1], v[119:120]
	;; [unrolled: 1-line block ×10, first 2 shown]
	v_add_f64 v[115:116], v[4:5], v[52:53]
	v_add_f64 v[117:118], v[62:63], v[78:79]
	;; [unrolled: 1-line block ×5, first 2 shown]
	v_fma_f64 v[8:9], v[36:37], s[18:19], v[30:31]
	v_fma_f64 v[80:81], v[109:110], s[16:17], v[80:81]
	;; [unrolled: 1-line block ×3, first 2 shown]
	s_mov_b32 s20, 0x9b97f4a8
	s_mov_b32 s21, 0x3fe9e377
	v_add_f64 v[151:152], v[64:65], v[56:57]
	v_add_f64 v[72:73], v[54:55], -v[6:7]
	v_add_f64 v[155:156], v[62:63], -v[78:79]
	v_fma_f64 v[92:93], v[36:37], s[16:17], v[92:93]
	v_fma_f64 v[26:27], v[129:130], s[2:3], v[26:27]
	v_mul_f64 v[105:106], v[133:134], s[0:1]
	v_mul_f64 v[107:108], v[135:136], s[2:3]
	v_add_f64 v[123:124], v[123:124], v[125:126]
	v_add_f64 v[98:99], v[98:99], v[149:150]
	;; [unrolled: 1-line block ×3, first 2 shown]
	v_fma_f64 v[12:13], v[121:122], s[18:19], v[32:33]
	v_fma_f64 v[30:31], v[121:122], s[16:17], v[90:91]
	;; [unrolled: 1-line block ×4, first 2 shown]
	v_add_f64 v[68:69], v[16:17], v[68:69]
	v_fma_f64 v[121:122], v[101:102], s[2:3], v[94:95]
	v_fma_f64 v[101:102], v[101:102], s[2:3], v[34:35]
	v_add_f64 v[16:17], v[52:53], -v[4:5]
	v_add_f64 v[34:35], v[60:61], -v[76:77]
	v_fma_f64 v[86:87], v[117:118], -0.5, v[46:47]
	v_fma_f64 v[90:91], v[153:154], -0.5, v[44:45]
	;; [unrolled: 1-line block ×3, first 2 shown]
	v_add_f64 v[114:115], v[14:15], v[10:11]
	v_mul_f64 v[10:11], v[24:25], s[20:21]
	v_add_f64 v[143:144], v[0:1], v[48:49]
	v_add_f64 v[145:146], v[66:67], v[58:59]
	;; [unrolled: 1-line block ×3, first 2 shown]
	v_fma_f64 v[125:126], v[28:29], s[2:3], v[105:106]
	v_fma_f64 v[105:106], v[119:120], -0.5, v[46:47]
	v_fma_f64 v[118:119], v[38:39], s[2:3], v[8:9]
	v_fma_f64 v[8:9], v[88:89], s[2:3], v[80:81]
	v_add_f64 v[141:142], v[52:53], -v[60:61]
	v_fma_f64 v[103:104], v[88:89], s[2:3], v[103:104]
	v_mul_f64 v[84:85], v[131:132], s[20:21]
	v_fma_f64 v[110:111], v[38:39], s[2:3], v[92:93]
	v_fma_f64 v[127:128], v[26:27], s[0:1], -v[107:108]
	v_fma_f64 v[82:83], v[151:152], -0.5, v[40:41]
	v_add_f64 v[70:71], v[18:19], v[70:71]
	v_fma_f64 v[129:130], v[123:124], s[2:3], v[12:13]
	v_fma_f64 v[137:138], v[123:124], s[2:3], v[30:31]
	;; [unrolled: 1-line block ×4, first 2 shown]
	v_mul_f64 v[12:13], v[131:132], s[18:19]
	v_mul_f64 v[14:15], v[28:29], s[14:15]
	v_add_f64 v[18:19], v[4:5], -v[76:77]
	v_add_f64 v[28:29], v[60:61], -v[52:53]
	;; [unrolled: 1-line block ×3, first 2 shown]
	v_fma_f64 v[32:33], v[16:17], s[14:15], v[86:87]
	v_add_f64 v[36:37], v[54:55], -v[62:63]
	v_add_f64 v[38:39], v[6:7], -v[78:79]
	v_fma_f64 v[80:81], v[34:35], s[0:1], v[105:106]
	v_add_f64 v[98:99], v[62:63], -v[54:55]
	v_add_f64 v[107:108], v[78:79], -v[6:7]
	v_fma_f64 v[116:117], v[155:156], s[0:1], v[94:95]
	v_fma_f64 v[123:124], v[72:73], s[14:15], v[90:91]
	;; [unrolled: 1-line block ×4, first 2 shown]
	v_fma_f64 v[151:152], v[8:9], s[16:17], -v[10:11]
	v_fma_f64 v[10:11], v[34:35], s[14:15], v[105:106]
	v_fma_f64 v[86:87], v[16:17], s[0:1], v[86:87]
	;; [unrolled: 1-line block ×3, first 2 shown]
	v_add_f64 v[131:132], v[50:51], -v[2:3]
	v_add_f64 v[105:106], v[48:49], -v[0:1]
	;; [unrolled: 1-line block ×3, first 2 shown]
	v_fma_f64 v[153:154], v[103:104], s[20:21], v[12:13]
	v_add_f64 v[12:13], v[58:59], -v[66:67]
	v_fma_f64 v[103:104], v[143:144], -0.5, v[40:41]
	v_fma_f64 v[133:134], v[133:134], s[2:3], v[14:15]
	v_fma_f64 v[14:15], v[145:146], -0.5, v[42:43]
	v_add_f64 v[143:144], v[56:57], -v[64:65]
	v_fma_f64 v[145:146], v[147:148], -0.5, v[42:43]
	v_add_f64 v[18:19], v[18:19], v[141:142]
	v_add_f64 v[28:29], v[30:31], v[28:29]
	v_fma_f64 v[30:31], v[34:35], s[18:19], v[32:33]
	v_add_f64 v[32:33], v[38:39], v[36:37]
	v_fma_f64 v[36:37], v[16:17], s[18:19], v[80:81]
	;; [unrolled: 2-line block ×3, first 2 shown]
	v_fma_f64 v[98:99], v[155:156], s[18:19], v[123:124]
	v_fma_f64 v[90:91], v[155:156], s[16:17], v[90:91]
	;; [unrolled: 1-line block ×6, first 2 shown]
	v_add_f64 v[107:108], v[48:49], -v[56:57]
	v_add_f64 v[34:35], v[0:1], -v[64:65]
	v_fma_f64 v[82:83], v[131:132], s[14:15], v[82:83]
	v_add_f64 v[116:117], v[56:57], -v[48:49]
	v_fma_f64 v[86:87], v[12:13], s[14:15], v[103:104]
	;; [unrolled: 2-line block ×3, first 2 shown]
	v_fma_f64 v[141:142], v[105:106], s[14:15], v[14:15]
	v_add_f64 v[147:148], v[50:51], -v[58:59]
	v_add_f64 v[155:156], v[2:3], -v[66:67]
	v_fma_f64 v[157:158], v[143:144], s[0:1], v[145:146]
	v_add_f64 v[161:162], v[66:67], -v[2:3]
	v_fma_f64 v[163:164], v[32:33], s[2:3], v[30:31]
	v_fma_f64 v[14:15], v[105:106], s[0:1], v[14:15]
	;; [unrolled: 1-line block ×10, first 2 shown]
	v_mul_f64 v[10:11], v[26:27], s[2:3]
	v_mul_f64 v[8:9], v[8:9], s[20:21]
	v_fma_f64 v[16:17], v[12:13], s[16:17], v[94:95]
	v_add_f64 v[26:27], v[34:35], v[107:108]
	v_fma_f64 v[12:13], v[12:13], s[18:19], v[82:83]
	v_fma_f64 v[28:29], v[131:132], s[16:17], v[86:87]
	v_add_f64 v[30:31], v[123:124], v[116:117]
	v_fma_f64 v[34:35], v[131:132], s[18:19], v[103:104]
	;; [unrolled: 3-line block ×3, first 2 shown]
	v_add_f64 v[123:124], v[161:162], v[159:160]
	v_mul_f64 v[131:132], v[163:164], s[16:17]
	v_fma_f64 v[143:144], v[143:144], s[16:17], v[14:15]
	v_mul_f64 v[141:142], v[36:37], s[0:1]
	v_mul_f64 v[145:146], v[165:166], s[2:3]
	;; [unrolled: 1-line block ×5, first 2 shown]
	v_fma_f64 v[159:160], v[105:106], s[16:17], v[18:19]
	v_mul_f64 v[161:162], v[38:39], s[2:3]
	v_mul_f64 v[167:168], v[32:33], s[20:21]
	v_fma_f64 v[135:136], v[135:136], s[14:15], -v[10:11]
	v_fma_f64 v[169:170], v[24:25], s[18:19], -v[8:9]
	v_add_f64 v[84:85], v[74:75], v[68:69]
	v_fma_f64 v[8:9], v[26:27], s[2:3], v[16:17]
	v_fma_f64 v[18:19], v[26:27], s[2:3], v[12:13]
	v_add_f64 v[86:87], v[114:115], v[70:71]
	v_fma_f64 v[10:11], v[30:31], s[2:3], v[28:29]
	v_fma_f64 v[16:17], v[30:31], s[2:3], v[34:35]
	v_add_f64 v[88:89], v[110:111], v[112:113]
	v_fma_f64 v[28:29], v[107:108], s[2:3], v[82:83]
	v_add_f64 v[90:91], v[129:130], v[153:154]
	v_fma_f64 v[30:31], v[123:124], s[2:3], v[116:117]
	v_fma_f64 v[12:13], v[80:81], s[20:21], v[131:132]
	;; [unrolled: 1-line block ×4, first 2 shown]
	v_fma_f64 v[24:25], v[38:39], s[0:1], -v[145:146]
	v_fma_f64 v[26:27], v[32:33], s[16:17], -v[147:148]
	v_fma_f64 v[32:33], v[163:164], s[20:21], v[155:156]
	v_fma_f64 v[34:35], v[36:37], s[2:3], v[157:158]
	;; [unrolled: 1-line block ×3, first 2 shown]
	v_fma_f64 v[38:39], v[165:166], s[14:15], -v[161:162]
	v_fma_f64 v[82:83], v[98:99], s[18:19], -v[167:168]
	v_add_f64 v[92:93], v[121:122], v[125:126]
	v_add_f64 v[94:95], v[139:140], v[133:134]
	;; [unrolled: 1-line block ×6, first 2 shown]
	v_add_f64 v[108:109], v[74:75], -v[68:69]
	v_add_f64 v[112:113], v[110:111], -v[112:113]
	;; [unrolled: 1-line block ×17, first 2 shown]
	s_load_dwordx2 s[4:5], s[4:5], 0x8
	v_add_f64 v[126:127], v[137:138], -v[169:170]
	v_mul_lo_u16 v101, v22, 10
	v_mov_b32_e32 v102, 4
	v_add_co_u32 v251, s0, 0x5a, v22
	s_waitcnt lgkmcnt(0)
	s_barrier
	v_lshlrev_b32_sdwa v103, v102, v101 dst_sel:DWORD dst_unused:UNUSED_PAD src0_sel:DWORD src1_sel:WORD_0
	v_add_co_ci_u32_e64 v101, null, 0, 0, s0
	buffer_gl0_inv
	ds_write_b128 v103, v[84:87]
	ds_write_b128 v103, v[88:91] offset:16
	ds_write_b128 v103, v[92:95] offset:32
	;; [unrolled: 1-line block ×5, first 2 shown]
	v_mul_u32_u24_e32 v84, 10, v251
	buffer_store_dword v84, off, s[24:27], 0 offset:436 ; 4-byte Folded Spill
	ds_write_b128 v103, v[112:115] offset:96
	ds_write_b128 v103, v[116:119] offset:112
	;; [unrolled: 1-line block ×4, first 2 shown]
	s_and_saveexec_b32 s0, vcc_lo
	s_cbranch_execz .LBB0_7
; %bb.6:
	v_add_f64 v[42:43], v[50:51], v[42:43]
	v_add_f64 v[46:47], v[54:55], v[46:47]
	;; [unrolled: 1-line block ×24, first 2 shown]
	v_mul_u32_u24_e32 v16, 10, v251
	v_lshlrev_b32_e32 v16, 4, v16
	v_add_f64 v[14:15], v[46:47], v[42:43]
	v_add_f64 v[10:11], v[42:43], -v[46:47]
	v_add_f64 v[12:13], v[44:45], v[40:41]
	v_add_f64 v[8:9], v[40:41], -v[44:45]
	ds_write_b128 v16, v[128:131] offset:96
	ds_write_b128 v16, v[132:135] offset:112
	;; [unrolled: 1-line block ×7, first 2 shown]
	ds_write_b128 v16, v[12:15]
	ds_write_b128 v16, v[8:11] offset:80
	ds_write_b128 v16, v[72:75] offset:144
.LBB0_7:
	s_or_b32 exec_lo, exec_lo, s0
	v_and_b32_e32 v0, 0xff, v22
	s_waitcnt lgkmcnt(0)
	s_waitcnt_vscnt null, 0x0
	s_barrier
	buffer_gl0_inv
	s_mov_b32 s0, 0x667f3bcd
	v_mul_lo_u16 v0, 0xcd, v0
	s_mov_b32 s1, 0xbfe6a09e
	s_mov_b32 s3, 0x3fe6a09e
	;; [unrolled: 1-line block ×4, first 2 shown]
	v_lshrrev_b16 v16, 11, v0
	s_mov_b32 s15, 0xbfed906b
	s_mov_b32 s21, 0x3fed906b
	;; [unrolled: 1-line block ×4, first 2 shown]
	v_mul_lo_u16 v0, v16, 10
	s_mov_b32 s17, 0xbfd87de2
	s_mov_b32 s19, 0x3fd87de2
	s_mov_b32 s18, s16
	v_mov_b32_e32 v46, 0xa0
	v_sub_nc_u16 v0, v22, v0
	v_mul_u32_u24_sdwa v16, v16, v46 dst_sel:DWORD dst_unused:UNUSED_PAD src0_sel:WORD_0 src1_sel:DWORD
	v_and_b32_e32 v17, 0xff, v0
	v_mad_u64_u32 v[18:19], null, 0xf0, v17, s[4:5]
	v_or_b32_e32 v46, v16, v17
	s_clause 0xd
	global_load_dwordx4 v[104:107], v[18:19], off
	global_load_dwordx4 v[90:93], v[18:19], off offset:16
	global_load_dwordx4 v[82:85], v[18:19], off offset:32
	;; [unrolled: 1-line block ×13, first 2 shown]
	ds_read_b128 v[0:3], v100 offset:1440
	ds_read_b128 v[4:7], v100 offset:2880
	;; [unrolled: 1-line block ×5, first 2 shown]
	ds_read_b128 v[28:31], v100
	ds_read_b128 v[32:35], v100 offset:8640
	ds_read_b128 v[36:39], v100 offset:10080
	;; [unrolled: 1-line block ×3, first 2 shown]
	s_waitcnt vmcnt(13) lgkmcnt(8)
	v_mul_f64 v[44:45], v[2:3], v[106:107]
	v_mul_f64 v[51:52], v[0:1], v[106:107]
	s_waitcnt vmcnt(12) lgkmcnt(7)
	v_mul_f64 v[53:54], v[6:7], v[92:93]
	s_waitcnt vmcnt(11) lgkmcnt(6)
	v_mul_f64 v[57:58], v[10:11], v[84:85]
	v_mul_f64 v[55:56], v[4:5], v[92:93]
	;; [unrolled: 1-line block ×3, first 2 shown]
	s_waitcnt vmcnt(10) lgkmcnt(5)
	v_mul_f64 v[61:62], v[14:15], v[88:89]
	s_waitcnt vmcnt(9) lgkmcnt(4)
	v_mul_f64 v[65:66], v[26:27], v[118:119]
	;; [unrolled: 2-line block ×3, first 2 shown]
	v_mul_f64 v[63:64], v[12:13], v[88:89]
	v_mul_f64 v[76:77], v[24:25], v[118:119]
	;; [unrolled: 1-line block ×3, first 2 shown]
	v_fma_f64 v[44:45], v[0:1], v[104:105], -v[44:45]
	buffer_store_dword v104, off, s[24:27], 0 offset:276 ; 4-byte Folded Spill
	buffer_store_dword v105, off, s[24:27], 0 offset:280 ; 4-byte Folded Spill
	;; [unrolled: 1-line block ×4, first 2 shown]
	v_fma_f64 v[53:54], v[4:5], v[90:91], -v[53:54]
	v_fma_f64 v[57:58], v[8:9], v[82:83], -v[57:58]
	v_fma_f64 v[61:62], v[12:13], v[86:87], -v[61:62]
	v_fma_f64 v[24:25], v[24:25], v[116:117], -v[65:66]
	v_fma_f64 v[32:33], v[32:33], v[112:113], -v[78:79]
	s_waitcnt vmcnt(7) lgkmcnt(1)
	v_mul_f64 v[12:13], v[38:39], v[110:111]
	s_waitcnt vmcnt(6) lgkmcnt(0)
	v_mul_f64 v[65:66], v[42:43], v[122:123]
	v_fma_f64 v[51:52], v[2:3], v[104:105], v[51:52]
	ds_read_b128 v[0:3], v100 offset:12960
	buffer_store_dword v90, off, s[24:27], 0 offset:260 ; 4-byte Folded Spill
	buffer_store_dword v91, off, s[24:27], 0 offset:264 ; 4-byte Folded Spill
	;; [unrolled: 1-line block ×8, first 2 shown]
	s_waitcnt vmcnt(5) lgkmcnt(0)
	v_mul_f64 v[78:79], v[2:3], v[126:127]
	v_fma_f64 v[78:79], v[0:1], v[124:125], -v[78:79]
	v_fma_f64 v[55:56], v[6:7], v[90:91], v[55:56]
	v_fma_f64 v[59:60], v[10:11], v[82:83], v[59:60]
	ds_read_b128 v[4:7], v100 offset:14400
	ds_read_b128 v[8:11], v100 offset:15840
	buffer_store_dword v86, off, s[24:27], 0 offset:244 ; 4-byte Folded Spill
	buffer_store_dword v87, off, s[24:27], 0 offset:248 ; 4-byte Folded Spill
	buffer_store_dword v88, off, s[24:27], 0 offset:252 ; 4-byte Folded Spill
	buffer_store_dword v89, off, s[24:27], 0 offset:256 ; 4-byte Folded Spill
	buffer_store_dword v116, off, s[24:27], 0 offset:324 ; 4-byte Folded Spill
	buffer_store_dword v117, off, s[24:27], 0 offset:328 ; 4-byte Folded Spill
	buffer_store_dword v118, off, s[24:27], 0 offset:332 ; 4-byte Folded Spill
	buffer_store_dword v119, off, s[24:27], 0 offset:336 ; 4-byte Folded Spill
	buffer_store_dword v112, off, s[24:27], 0 offset:308 ; 4-byte Folded Spill
	buffer_store_dword v113, off, s[24:27], 0 offset:312 ; 4-byte Folded Spill
	buffer_store_dword v114, off, s[24:27], 0 offset:316 ; 4-byte Folded Spill
	buffer_store_dword v115, off, s[24:27], 0 offset:320 ; 4-byte Folded Spill
	v_fma_f64 v[63:64], v[14:15], v[86:87], v[63:64]
	v_mul_f64 v[14:15], v[36:37], v[110:111]
	v_fma_f64 v[26:27], v[26:27], v[116:117], v[76:77]
	v_mul_f64 v[76:77], v[40:41], v[122:123]
	;; [unrolled: 2-line block ×3, first 2 shown]
	v_fma_f64 v[36:37], v[36:37], v[108:109], -v[12:13]
	buffer_store_dword v108, off, s[24:27], 0 offset:292 ; 4-byte Folded Spill
	buffer_store_dword v109, off, s[24:27], 0 offset:296 ; 4-byte Folded Spill
	;; [unrolled: 1-line block ×4, first 2 shown]
	v_fma_f64 v[40:41], v[40:41], v[120:121], -v[65:66]
	buffer_store_dword v120, off, s[24:27], 0 offset:340 ; 4-byte Folded Spill
	buffer_store_dword v121, off, s[24:27], 0 offset:344 ; 4-byte Folded Spill
	;; [unrolled: 1-line block ×8, first 2 shown]
	s_waitcnt vmcnt(4) lgkmcnt(1)
	v_mul_f64 v[12:13], v[6:7], v[142:143]
	s_waitcnt vmcnt(3) lgkmcnt(0)
	v_mul_f64 v[65:66], v[10:11], v[138:139]
	v_fma_f64 v[12:13], v[4:5], v[140:141], -v[12:13]
	v_fma_f64 v[65:66], v[8:9], v[136:137], -v[65:66]
	v_fma_f64 v[38:39], v[38:39], v[108:109], v[14:15]
	v_mul_f64 v[14:15], v[4:5], v[142:143]
	v_fma_f64 v[42:43], v[42:43], v[120:121], v[76:77]
	v_fma_f64 v[80:81], v[2:3], v[124:125], v[80:81]
	ds_read_b128 v[0:3], v100 offset:17280
	buffer_store_dword v140, off, s[24:27], 0 offset:388 ; 4-byte Folded Spill
	buffer_store_dword v141, off, s[24:27], 0 offset:392 ; 4-byte Folded Spill
	;; [unrolled: 1-line block ×4, first 2 shown]
	v_mul_f64 v[76:77], v[8:9], v[138:139]
	s_waitcnt vmcnt(2) lgkmcnt(0)
	v_mul_f64 v[8:9], v[2:3], v[146:147]
	v_fma_f64 v[8:9], v[0:1], v[144:145], -v[8:9]
	v_add_f64 v[116:117], v[61:62], -v[8:9]
	v_add_f64 v[8:9], v[51:52], -v[80:81]
	v_fma_f64 v[51:52], v[51:52], 2.0, -v[8:9]
	v_fma_f64 v[14:15], v[6:7], v[140:141], v[14:15]
	ds_read_b128 v[4:7], v100 offset:18720
	buffer_store_dword v136, off, s[24:27], 0 offset:372 ; 4-byte Folded Spill
	buffer_store_dword v137, off, s[24:27], 0 offset:376 ; 4-byte Folded Spill
	;; [unrolled: 1-line block ×4, first 2 shown]
	v_fma_f64 v[76:77], v[10:11], v[136:137], v[76:77]
	v_mul_f64 v[10:11], v[0:1], v[146:147]
	buffer_store_dword v144, off, s[24:27], 0 offset:404 ; 4-byte Folded Spill
	buffer_store_dword v145, off, s[24:27], 0 offset:408 ; 4-byte Folded Spill
	;; [unrolled: 1-line block ×4, first 2 shown]
	s_waitcnt vmcnt(1) lgkmcnt(0)
	v_mul_f64 v[0:1], v[6:7], v[98:99]
	v_fma_f64 v[82:83], v[4:5], v[96:97], -v[0:1]
	v_fma_f64 v[10:11], v[2:3], v[144:145], v[10:11]
	v_mul_f64 v[2:3], v[4:5], v[98:99]
	v_add_f64 v[118:119], v[63:64], -v[10:11]
	v_fma_f64 v[108:109], v[6:7], v[96:97], v[2:3]
	ds_read_b128 v[0:3], v100 offset:20160
	ds_read_b128 v[4:7], v100 offset:21600
	v_add_f64 v[10:11], v[44:45], -v[78:79]
	v_add_f64 v[78:79], v[24:25], -v[82:83]
	s_waitcnt vmcnt(0) lgkmcnt(1)
	v_mul_f64 v[104:105], v[2:3], v[49:50]
	v_add_f64 v[80:81], v[26:27], -v[108:109]
	v_fma_f64 v[44:45], v[44:45], 2.0, -v[10:11]
	v_fma_f64 v[24:25], v[24:25], 2.0, -v[78:79]
	v_add_f64 v[78:79], v[8:9], v[78:79]
	v_fma_f64 v[110:111], v[0:1], v[47:48], -v[104:105]
	global_load_dwordx4 v[104:107], v[18:19], off offset:224
	v_mul_f64 v[0:1], v[0:1], v[49:50]
	v_fma_f64 v[26:27], v[26:27], 2.0, -v[80:81]
	v_add_f64 v[80:81], v[10:11], -v[80:81]
	v_add_f64 v[108:109], v[44:45], -v[24:25]
	s_waitcnt vmcnt(0) lgkmcnt(0)
	s_waitcnt_vscnt null, 0x0
	s_barrier
	buffer_gl0_inv
	v_add_f64 v[110:111], v[32:33], -v[110:111]
	v_fma_f64 v[112:113], v[2:3], v[47:48], v[0:1]
	v_add_f64 v[2:3], v[30:31], -v[42:43]
	v_fma_f64 v[10:11], v[10:11], 2.0, -v[80:81]
	v_fma_f64 v[44:45], v[44:45], 2.0, -v[108:109]
	;; [unrolled: 1-line block ×3, first 2 shown]
	v_add_f64 v[112:113], v[34:35], -v[112:113]
	v_fma_f64 v[42:43], v[30:31], 2.0, -v[2:3]
	v_fma_f64 v[30:31], v[63:64], 2.0, -v[118:119]
	;; [unrolled: 1-line block ×3, first 2 shown]
	v_add_f64 v[63:64], v[42:43], -v[30:31]
	v_fma_f64 v[42:43], v[42:43], 2.0, -v[63:64]
	v_mul_f64 v[0:1], v[6:7], v[106:107]
	v_fma_f64 v[18:19], v[4:5], v[104:105], -v[0:1]
	v_mul_f64 v[0:1], v[4:5], v[106:107]
	v_add_f64 v[4:5], v[53:54], -v[12:13]
	v_add_f64 v[12:13], v[59:60], -v[76:77]
	;; [unrolled: 1-line block ×3, first 2 shown]
	v_fma_f64 v[114:115], v[6:7], v[104:105], v[0:1]
	v_add_f64 v[6:7], v[55:56], -v[14:15]
	v_add_f64 v[14:15], v[57:58], -v[65:66]
	;; [unrolled: 1-line block ×3, first 2 shown]
	v_fma_f64 v[53:54], v[53:54], 2.0, -v[4:5]
	v_fma_f64 v[59:60], v[59:60], 2.0, -v[12:13]
	v_add_f64 v[112:113], v[4:5], -v[112:113]
	v_fma_f64 v[36:37], v[36:37], 2.0, -v[18:19]
	v_add_f64 v[65:66], v[38:39], -v[114:115]
	v_fma_f64 v[55:56], v[55:56], 2.0, -v[6:7]
	v_fma_f64 v[57:58], v[57:58], 2.0, -v[14:15]
	;; [unrolled: 1-line block ×4, first 2 shown]
	v_add_f64 v[76:77], v[53:54], -v[32:33]
	v_add_f64 v[114:115], v[51:52], -v[26:27]
	;; [unrolled: 1-line block ×3, first 2 shown]
	v_add_f64 v[116:117], v[2:3], v[116:117]
	v_add_f64 v[110:111], v[6:7], v[110:111]
	;; [unrolled: 1-line block ×3, first 2 shown]
	v_fma_f64 v[38:39], v[38:39], 2.0, -v[65:66]
	v_add_f64 v[82:83], v[55:56], -v[34:35]
	v_add_f64 v[36:37], v[57:58], -v[36:37]
	;; [unrolled: 1-line block ×4, first 2 shown]
	v_add_f64 v[122:123], v[63:64], v[76:77]
	v_fma_f64 v[18:19], v[112:113], s[2:3], v[118:119]
	v_add_f64 v[38:39], v[59:60], -v[38:39]
	v_add_f64 v[30:31], v[114:115], v[36:37]
	v_fma_f64 v[36:37], v[57:58], 2.0, -v[36:37]
	v_add_f64 v[120:121], v[61:62], -v[82:83]
	v_fma_f64 v[126:127], v[63:64], 2.0, -v[122:123]
	v_fma_f64 v[40:41], v[40:41], 2.0, -v[61:62]
	v_fma_f64 v[142:143], v[110:111], s[0:1], v[18:19]
	v_fma_f64 v[18:19], v[110:111], s[2:3], v[116:117]
	v_fma_f64 v[14:15], v[14:15], 2.0, -v[65:66]
	v_add_f64 v[28:29], v[108:109], -v[38:39]
	v_fma_f64 v[38:39], v[59:60], 2.0, -v[38:39]
	v_fma_f64 v[26:27], v[30:31], s[2:3], v[122:123]
	v_fma_f64 v[124:125], v[61:62], 2.0, -v[120:121]
	v_add_f64 v[61:62], v[44:45], -v[36:37]
	v_fma_f64 v[146:147], v[118:119], 2.0, -v[142:143]
	v_fma_f64 v[144:145], v[112:113], s[2:3], v[18:19]
	v_fma_f64 v[18:19], v[65:66], s[2:3], v[80:81]
	;; [unrolled: 1-line block ×3, first 2 shown]
	v_fma_f64 v[32:33], v[108:109], 2.0, -v[28:29]
	v_fma_f64 v[26:27], v[28:29], s[2:3], v[26:27]
	v_fma_f64 v[28:29], v[114:115], 2.0, -v[30:31]
	v_fma_f64 v[148:149], v[116:117], 2.0, -v[144:145]
	v_fma_f64 v[18:19], v[140:141], s[0:1], v[18:19]
	v_fma_f64 v[24:25], v[30:31], s[0:1], v[24:25]
	;; [unrolled: 1-line block ×8, first 2 shown]
	v_fma_f64 v[108:109], v[124:125], 2.0, -v[28:29]
	v_fma_f64 v[32:33], v[65:66], s[2:3], v[32:33]
	v_fma_f64 v[138:139], v[32:33], s[20:21], v[144:145]
	;; [unrolled: 1-line block ×3, first 2 shown]
	v_fma_f64 v[32:33], v[78:79], 2.0, -v[32:33]
	v_fma_f64 v[138:139], v[18:19], s[18:19], v[138:139]
	v_fma_f64 v[18:19], v[80:81], 2.0, -v[18:19]
	v_fma_f64 v[150:151], v[32:33], s[16:17], v[148:149]
	v_fma_f64 v[34:35], v[18:19], s[16:17], v[146:147]
	;; [unrolled: 1-line block ×4, first 2 shown]
	v_fma_f64 v[18:19], v[53:54], 2.0, -v[76:77]
	v_fma_f64 v[53:54], v[55:56], 2.0, -v[82:83]
	v_fma_f64 v[55:56], v[51:52], 2.0, -v[114:115]
	v_lshlrev_b32_e32 v51, 4, v46
	v_fma_f64 v[114:115], v[148:149], 2.0, -v[34:35]
	v_add_f64 v[57:58], v[40:41], -v[18:19]
	v_add_f64 v[52:53], v[42:43], -v[53:54]
	;; [unrolled: 1-line block ×3, first 2 shown]
	v_fma_f64 v[40:41], v[40:41], 2.0, -v[57:58]
	v_add_f64 v[18:19], v[52:53], v[61:62]
	v_add_f64 v[16:17], v[57:58], -v[59:60]
	v_fma_f64 v[42:43], v[42:43], 2.0, -v[52:53]
	v_fma_f64 v[38:39], v[52:53], 2.0, -v[18:19]
	ds_write_b128 v51, v[16:19] offset:1920
	v_fma_f64 v[18:19], v[2:3], 2.0, -v[116:117]
	v_fma_f64 v[2:3], v[6:7], 2.0, -v[110:111]
	v_fma_f64 v[36:37], v[57:58], 2.0, -v[16:17]
	v_fma_f64 v[16:17], v[0:1], 2.0, -v[118:119]
	v_fma_f64 v[0:1], v[4:5], 2.0, -v[112:113]
	v_fma_f64 v[4:5], v[8:9], 2.0, -v[78:79]
	v_fma_f64 v[6:7], v[12:13], 2.0, -v[140:141]
	v_fma_f64 v[8:9], v[14:15], s[0:1], v[10:11]
	v_fma_f64 v[110:111], v[126:127], 2.0, -v[30:31]
	v_fma_f64 v[112:113], v[146:147], 2.0, -v[32:33]
	v_fma_f64 v[12:13], v[2:3], s[0:1], v[18:19]
	v_fma_f64 v[8:9], v[6:7], s[0:1], v[8:9]
	;; [unrolled: 1-line block ×5, first 2 shown]
	v_fma_f64 v[10:11], v[10:11], 2.0, -v[8:9]
	v_fma_f64 v[6:7], v[14:15], s[2:3], v[6:7]
	v_fma_f64 v[14:15], v[122:123], 2.0, -v[26:27]
	v_fma_f64 v[78:79], v[18:19], 2.0, -v[63:64]
	v_fma_f64 v[65:66], v[2:3], s[0:1], v[0:1]
	v_fma_f64 v[18:19], v[144:145], 2.0, -v[138:139]
	v_cmp_gt_u16_e64 s0, 30, v22
	v_fma_f64 v[0:1], v[6:7], s[18:19], v[63:64]
	v_fma_f64 v[4:5], v[4:5], 2.0, -v[6:7]
	v_fma_f64 v[12:13], v[8:9], s[18:19], v[65:66]
	v_fma_f64 v[76:77], v[16:17], 2.0, -v[65:66]
	v_fma_f64 v[16:17], v[142:143], 2.0, -v[136:137]
	v_fma_f64 v[2:3], v[8:9], s[20:21], v[0:1]
	v_fma_f64 v[8:9], v[4:5], s[14:15], v[78:79]
	;; [unrolled: 1-line block ×4, first 2 shown]
	v_fma_f64 v[12:13], v[120:121], 2.0, -v[24:25]
	v_fma_f64 v[118:119], v[63:64], 2.0, -v[2:3]
	;; [unrolled: 1-line block ×3, first 2 shown]
	v_fma_f64 v[4:5], v[4:5], s[16:17], v[6:7]
	v_fma_f64 v[6:7], v[10:11], s[18:19], v[8:9]
	v_fma_f64 v[8:9], v[44:45], 2.0, -v[61:62]
	v_fma_f64 v[10:11], v[55:56], 2.0, -v[59:60]
	;; [unrolled: 1-line block ×4, first 2 shown]
	v_add_f64 v[8:9], v[40:41], -v[8:9]
	v_add_f64 v[10:11], v[42:43], -v[10:11]
	v_fma_f64 v[40:41], v[40:41], 2.0, -v[8:9]
	v_fma_f64 v[42:43], v[42:43], 2.0, -v[10:11]
	ds_write_b128 v51, v[24:27] offset:2240
	ds_write_b128 v51, v[136:139] offset:2400
	;; [unrolled: 1-line block ×9, first 2 shown]
	ds_write_b128 v51, v[40:43]
	ds_write_b128 v51, v[108:111] offset:320
	ds_write_b128 v51, v[112:115] offset:480
	;; [unrolled: 1-line block ×5, first 2 shown]
	s_waitcnt lgkmcnt(0)
	s_barrier
	buffer_gl0_inv
	ds_read_b128 v[156:159], v100
	ds_read_b128 v[148:151], v100 offset:1440
	ds_read_b128 v[196:199], v100 offset:15360
	;; [unrolled: 1-line block ×14, first 2 shown]
	s_and_saveexec_b32 s1, s0
	s_cbranch_execz .LBB0_9
; %bb.8:
	ds_read_b128 v[136:139], v100 offset:7200
	ds_read_b128 v[128:131], v100 offset:14880
	;; [unrolled: 1-line block ×3, first 2 shown]
.LBB0_9:
	s_or_b32 exec_lo, exec_lo, s1
	v_lshlrev_b64 v[0:1], 5, v[22:23]
	v_mov_b32_e32 v29, 0xcccd
	s_mov_b32 s15, 0xbfebb67a
	v_add_co_u32 v25, s1, s4, v0
	v_add_co_ci_u32_e64 v26, s1, s5, v1, s1
	v_add_co_u32 v0, s1, 0x800, v25
	v_add_co_ci_u32_e64 v1, s1, 0, v26, s1
	;; [unrolled: 2-line block ×3, first 2 shown]
	s_clause 0x2
	global_load_dwordx4 v[108:111], v[0:1], off offset:352
	global_load_dwordx4 v[120:123], v[2:3], off offset:16
	;; [unrolled: 1-line block ×3, first 2 shown]
	v_add_co_u32 v2, s1, 0xffffffba, v22
	v_add_co_u32 v0, s2, 0xbe0, v25
	v_add_co_ci_u32_e64 v3, null, 0, -1, s1
	v_cmp_gt_u16_e64 s1, 0x46, v22
	v_add_co_ci_u32_e64 v1, s2, 0, v26, s2
	s_mov_b32 s2, 0xe8584caa
	s_mov_b32 s3, 0x3febb67a
	v_cndmask_b32_e64 v46, v3, v101, s1
	v_cndmask_b32_e64 v45, v2, v251, s1
	global_load_dwordx4 v[116:119], v[0:1], off offset:16
	s_mov_b32 s14, s2
	v_lshlrev_b64 v[0:1], 5, v[45:46]
	v_add_co_u32 v2, s1, s4, v0
	v_add_co_ci_u32_e64 v3, s1, s5, v1, s1
	v_add_co_u32 v0, s1, 0x800, v2
	v_add_co_ci_u32_e64 v1, s1, 0, v3, s1
	v_add_co_u32 v248, s1, 0x10e, v22
	v_add_co_ci_u32_e64 v249, null, 0, 0, s1
	global_load_dwordx4 v[124:127], v[0:1], off offset:352
	v_mul_u32_u24_sdwa v0, v248, v29 dst_sel:DWORD dst_unused:UNUSED_PAD src0_sel:WORD_0 src1_sel:DWORD
	v_lshrrev_b32_e32 v46, 23, v0
	v_add_co_u32 v0, s1, 0x960, v2
	v_add_co_ci_u32_e64 v1, s1, 0, v3, s1
	v_mul_lo_u16 v4, 0xa0, v46
	global_load_dwordx4 v[192:195], v[0:1], off offset:16
	v_sub_nc_u16 v84, v248, v4
	v_lshlrev_b16 v0, 5, v84
	v_and_b32_e32 v0, 0xffff, v0
	v_add_co_u32 v2, s1, s4, v0
	v_add_co_ci_u32_e64 v3, null, s5, 0, s1
	v_add_co_u32 v0, s1, 0x800, v2
	v_add_co_ci_u32_e64 v1, s1, 0, v3, s1
	global_load_dwordx4 v[160:163], v[0:1], off offset:352
	v_add_co_u32 v0, s1, 0x960, v2
	v_add_co_ci_u32_e64 v1, s1, 0, v3, s1
	global_load_dwordx4 v[164:167], v[0:1], off offset:16
	s_waitcnt vmcnt(7) lgkmcnt(4)
	v_mul_f64 v[0:1], v[210:211], v[110:111]
	v_mul_f64 v[2:3], v[208:209], v[110:111]
	s_waitcnt vmcnt(6)
	v_mul_f64 v[4:5], v[198:199], v[122:123]
	s_waitcnt vmcnt(5)
	v_mul_f64 v[8:9], v[202:203], v[114:115]
	v_mul_f64 v[10:11], v[200:201], v[114:115]
	s_waitcnt vmcnt(4)
	v_mul_f64 v[12:13], v[206:207], v[118:119]
	v_fma_f64 v[6:7], v[208:209], v[108:109], -v[0:1]
	v_fma_f64 v[0:1], v[210:211], v[108:109], v[2:3]
	v_mul_f64 v[2:3], v[196:197], v[122:123]
	v_fma_f64 v[16:17], v[200:201], v[112:113], -v[8:9]
	v_mul_f64 v[8:9], v[204:205], v[118:119]
	v_fma_f64 v[14:15], v[202:203], v[112:113], v[10:11]
	v_fma_f64 v[4:5], v[196:197], v[120:121], -v[4:5]
	v_fma_f64 v[18:19], v[204:205], v[116:117], -v[12:13]
	s_waitcnt vmcnt(3)
	v_mul_f64 v[10:11], v[186:187], v[126:127]
	v_add_f64 v[31:32], v[156:157], v[6:7]
	v_fma_f64 v[2:3], v[198:199], v[120:121], v[2:3]
	v_fma_f64 v[12:13], v[206:207], v[116:117], v[8:9]
	v_mul_f64 v[8:9], v[184:185], v[126:127]
	s_waitcnt vmcnt(2)
	v_mul_f64 v[23:24], v[182:183], v[194:195]
	v_fma_f64 v[37:38], v[184:185], v[124:125], -v[10:11]
	v_add_f64 v[33:34], v[0:1], -v[2:3]
	v_add_f64 v[101:102], v[14:15], -v[12:13]
	v_fma_f64 v[39:40], v[186:187], v[124:125], v[8:9]
	v_mul_f64 v[8:9], v[180:181], v[194:195]
	v_fma_f64 v[41:42], v[180:181], v[192:193], -v[23:24]
	v_add_co_u32 v23, s1, 0x168, v22
	v_add_co_ci_u32_e64 v24, null, 0, 0, s1
	v_mul_u32_u24_sdwa v27, v23, v29 dst_sel:DWORD dst_unused:UNUSED_PAD src0_sel:WORD_0 src1_sel:DWORD
	s_waitcnt vmcnt(1) lgkmcnt(2)
	v_mul_f64 v[10:11], v[190:191], v[162:163]
	v_lshrrev_b32_e32 v27, 23, v27
	v_mul_lo_u16 v27, 0xa0, v27
	v_fma_f64 v[43:44], v[182:183], v[192:193], v[8:9]
	v_mul_f64 v[8:9], v[188:189], v[162:163]
	v_sub_nc_u16 v85, v23, v27
	v_fma_f64 v[52:53], v[188:189], v[160:161], -v[10:11]
	s_waitcnt vmcnt(0)
	v_mul_f64 v[10:11], v[176:177], v[166:167]
	v_fma_f64 v[54:55], v[190:191], v[160:161], v[8:9]
	v_mul_f64 v[8:9], v[178:179], v[166:167]
	v_fma_f64 v[58:59], v[178:179], v[164:165], v[10:11]
	v_fma_f64 v[56:57], v[176:177], v[164:165], -v[8:9]
	v_lshlrev_b16 v8, 5, v85
	v_and_b32_e32 v8, 0xffff, v8
	v_add_co_u32 v10, s1, s4, v8
	v_add_co_ci_u32_e64 v11, null, s5, 0, s1
	v_add_co_u32 v8, s1, 0x800, v10
	v_add_co_ci_u32_e64 v9, s1, 0, v11, s1
	v_add_co_u32 v10, s1, 0x960, v10
	v_add_co_ci_u32_e64 v11, s1, 0, v11, s1
	s_clause 0x1
	global_load_dwordx4 v[184:187], v[8:9], off offset:352
	global_load_dwordx4 v[176:179], v[10:11], off offset:16
	v_add_co_u32 v27, s1, 0x1c2, v22
	v_add_co_ci_u32_e64 v28, null, 0, 0, s1
	s_waitcnt vmcnt(1) lgkmcnt(1)
	v_mul_f64 v[8:9], v[174:175], v[186:187]
	v_fma_f64 v[60:61], v[172:173], v[184:185], -v[8:9]
	v_mul_f64 v[8:9], v[172:173], v[186:187]
	v_fma_f64 v[62:63], v[174:175], v[184:185], v[8:9]
	s_waitcnt vmcnt(0) lgkmcnt(0)
	v_mul_f64 v[8:9], v[170:171], v[178:179]
	v_fma_f64 v[64:65], v[168:169], v[176:177], -v[8:9]
	v_mul_f64 v[8:9], v[168:169], v[178:179]
	v_fma_f64 v[66:67], v[170:171], v[176:177], v[8:9]
	v_mul_u32_u24_sdwa v8, v27, v29 dst_sel:DWORD dst_unused:UNUSED_PAD src0_sel:WORD_0 src1_sel:DWORD
	v_add_f64 v[29:30], v[158:159], v[0:1]
	v_lshrrev_b32_e32 v8, 23, v8
	v_mul_lo_u16 v8, 0xa0, v8
	v_sub_nc_u16 v8, v27, v8
	buffer_store_dword v8, off, s[24:27], 0 offset:420 ; 4-byte Folded Spill
	v_lshlrev_b16 v8, 5, v8
	v_and_b32_e32 v8, 0xffff, v8
	v_add_co_u32 v10, s1, s4, v8
	v_add_co_ci_u32_e64 v11, null, s5, 0, s1
	v_add_co_u32 v8, s1, 0x800, v10
	v_add_co_ci_u32_e64 v9, s1, 0, v11, s1
	v_add_co_u32 v10, s1, 0x960, v10
	v_add_co_ci_u32_e64 v11, s1, 0, v11, s1
	s_clause 0x1
	global_load_dwordx4 v[168:171], v[8:9], off offset:352
	global_load_dwordx4 v[172:175], v[10:11], off offset:16
	v_add_f64 v[10:11], v[0:1], v[2:3]
	v_add_f64 v[2:3], v[29:30], v[2:3]
	v_add_f64 v[29:30], v[6:7], -v[4:5]
	v_add_f64 v[0:1], v[31:32], v[4:5]
	s_waitcnt vmcnt(0)
	s_waitcnt_vscnt null, 0x0
	s_barrier
	buffer_gl0_inv
	v_cmp_lt_u16_e64 s1, 0x45, v22
	v_fma_f64 v[10:11], v[10:11], -0.5, v[158:159]
	ds_write_b128 v100, v[0:3]
	v_add_f64 v[0:1], v[37:38], v[41:42]
	v_mul_f64 v[8:9], v[130:131], v[170:171]
	v_fma_f64 v[76:77], v[128:129], v[168:169], -v[8:9]
	v_mul_f64 v[8:9], v[128:129], v[170:171]
	v_fma_f64 v[78:79], v[130:131], v[168:169], v[8:9]
	v_mul_f64 v[8:9], v[134:135], v[174:175]
	v_fma_f64 v[80:81], v[132:133], v[172:173], -v[8:9]
	v_mul_f64 v[8:9], v[132:133], v[174:175]
	v_fma_f64 v[82:83], v[134:135], v[172:173], v[8:9]
	v_add_f64 v[8:9], v[6:7], v[4:5]
	v_fma_f64 v[6:7], v[29:30], s[14:15], v[10:11]
	v_fma_f64 v[10:11], v[29:30], s[2:3], v[10:11]
	v_add_f64 v[29:30], v[16:17], v[18:19]
	v_fma_f64 v[8:9], v[8:9], -0.5, v[156:157]
	v_fma_f64 v[31:32], v[29:30], -0.5, v[152:153]
	v_add_f64 v[29:30], v[14:15], v[12:13]
	v_fma_f64 v[4:5], v[33:34], s[2:3], v[8:9]
	v_fma_f64 v[8:9], v[33:34], s[14:15], v[8:9]
	v_add_f64 v[33:34], v[152:153], v[16:17]
	v_add_f64 v[16:17], v[16:17], -v[18:19]
	v_fma_f64 v[35:36], v[29:30], -0.5, v[154:155]
	v_add_f64 v[29:30], v[154:155], v[14:15]
	ds_write_b128 v100, v[4:7] offset:2560
	ds_write_b128 v100, v[8:11] offset:5120
	v_add_f64 v[4:5], v[52:53], v[56:57]
	v_add_f64 v[8:9], v[144:145], v[52:53]
	v_add_f64 v[52:53], v[52:53], -v[56:57]
	v_add_f64 v[14:15], v[29:30], v[12:13]
	v_add_f64 v[12:13], v[33:34], v[18:19]
	v_fma_f64 v[29:30], v[101:102], s[2:3], v[31:32]
	v_fma_f64 v[33:34], v[101:102], s[14:15], v[31:32]
	;; [unrolled: 1-line block ×4, first 2 shown]
	v_fma_f64 v[16:17], v[0:1], -0.5, v[148:149]
	v_add_f64 v[0:1], v[39:40], v[43:44]
	v_add_f64 v[101:102], v[148:149], v[37:38]
	v_fma_f64 v[10:11], v[4:5], -0.5, v[144:145]
	v_add_f64 v[4:5], v[54:55], v[58:59]
	v_fma_f64 v[18:19], v[0:1], -0.5, v[150:151]
	v_add_f64 v[0:1], v[150:151], v[39:40]
	v_add_f64 v[39:40], v[39:40], -v[43:44]
	v_add_f64 v[2:3], v[0:1], v[43:44]
	v_add_f64 v[43:44], v[37:38], -v[41:42]
	v_add_f64 v[0:1], v[101:102], v[41:42]
	v_fma_f64 v[37:38], v[39:40], s[2:3], v[16:17]
	v_fma_f64 v[41:42], v[39:40], s[14:15], v[16:17]
	v_fma_f64 v[16:17], v[4:5], -0.5, v[146:147]
	v_add_f64 v[4:5], v[146:147], v[54:55]
	v_fma_f64 v[39:40], v[43:44], s[14:15], v[18:19]
	v_fma_f64 v[43:44], v[43:44], s[2:3], v[18:19]
	v_add_f64 v[18:19], v[54:55], -v[58:59]
	v_add_f64 v[54:55], v[140:141], v[60:61]
	v_fma_f64 v[130:131], v[52:53], s[2:3], v[16:17]
	v_add_f64 v[6:7], v[4:5], v[58:59]
	v_add_f64 v[4:5], v[8:9], v[56:57]
	v_add_f64 v[56:57], v[62:63], -v[66:67]
	v_fma_f64 v[8:9], v[18:19], s[2:3], v[10:11]
	v_fma_f64 v[128:129], v[18:19], s[14:15], v[10:11]
	;; [unrolled: 1-line block ×3, first 2 shown]
	v_add_f64 v[16:17], v[60:61], v[64:65]
	v_add_f64 v[18:19], v[62:63], v[66:67]
	;; [unrolled: 1-line block ×5, first 2 shown]
	v_fma_f64 v[16:17], v[16:17], -0.5, v[140:141]
	v_fma_f64 v[18:19], v[18:19], -0.5, v[142:143]
	v_add_f64 v[134:135], v[52:53], v[66:67]
	v_add_f64 v[52:53], v[60:61], -v[64:65]
	v_add_f64 v[224:225], v[54:55], v[80:81]
	v_add_f64 v[54:55], v[76:77], -v[80:81]
	v_fma_f64 v[140:141], v[56:57], s[2:3], v[16:17]
	v_fma_f64 v[144:145], v[56:57], s[14:15], v[16:17]
	v_add_f64 v[16:17], v[76:77], v[80:81]
	v_fma_f64 v[142:143], v[52:53], s[14:15], v[18:19]
	v_fma_f64 v[146:147], v[52:53], s[2:3], v[18:19]
	v_add_f64 v[56:57], v[78:79], -v[82:83]
	v_fma_f64 v[18:19], v[16:17], -0.5, v[136:137]
	v_add_f64 v[16:17], v[78:79], v[82:83]
	v_fma_f64 v[208:209], v[56:57], s[14:15], v[18:19]
	v_fma_f64 v[52:53], v[16:17], -0.5, v[138:139]
	v_add_f64 v[16:17], v[138:139], v[78:79]
	v_fma_f64 v[210:211], v[54:55], s[2:3], v[52:53]
	v_add_f64 v[226:227], v[16:17], v[82:83]
	v_fma_f64 v[16:17], v[56:57], s[2:3], v[18:19]
	v_fma_f64 v[18:19], v[54:55], s[14:15], v[52:53]
	v_cndmask_b32_e64 v52, 0, 0x1e0, s1
	v_add_lshl_u32 v45, v45, v52, 4
	ds_write_b128 v45, v[0:3]
	v_mov_b32_e32 v0, 4
	v_mad_u16 v1, 0x1e0, v46, v84
	ds_write_b128 v45, v[37:40] offset:2560
	buffer_store_dword v45, off, s[24:27], 0 offset:432 ; 4-byte Folded Spill
	v_lshlrev_b32_sdwa v2, v0, v85 dst_sel:DWORD dst_unused:UNUSED_PAD src0_sel:DWORD src1_sel:WORD_0
	v_lshlrev_b32_sdwa v1, v0, v1 dst_sel:DWORD dst_unused:UNUSED_PAD src0_sel:DWORD src1_sel:WORD_0
	ds_write_b128 v45, v[41:44] offset:5120
	ds_write_b128 v100, v[12:15] offset:8000
	;; [unrolled: 1-line block ×4, first 2 shown]
	ds_write_b128 v1, v[4:7]
	ds_write_b128 v1, v[8:11] offset:2560
	buffer_store_dword v1, off, s[24:27], 0 offset:428 ; 4-byte Folded Spill
	ds_write_b128 v1, v[128:131] offset:5120
	ds_write_b128 v2, v[132:135] offset:15360
	ds_write_b128 v2, v[140:143] offset:17920
	buffer_store_dword v2, off, s[24:27], 0 offset:424 ; 4-byte Folded Spill
	ds_write_b128 v2, v[144:147] offset:20480
	s_and_saveexec_b32 s1, s0
	s_cbranch_execz .LBB0_11
; %bb.10:
	buffer_load_dword v1, off, s[24:27], 0 offset:420 ; 4-byte Folded Reload
	s_waitcnt vmcnt(0)
	v_lshlrev_b32_sdwa v0, v0, v1 dst_sel:DWORD dst_unused:UNUSED_PAD src0_sel:DWORD src1_sel:WORD_0
	ds_write_b128 v0, v[224:227] offset:15360
	ds_write_b128 v0, v[16:19] offset:17920
	;; [unrolled: 1-line block ×3, first 2 shown]
.LBB0_11:
	s_or_b32 exec_lo, exec_lo, s1
	s_waitcnt lgkmcnt(0)
	s_waitcnt_vscnt null, 0x0
	s_barrier
	buffer_gl0_inv
	ds_read_b128 v[12:15], v100
	ds_read_b128 v[204:207], v100 offset:1440
	ds_read_b128 v[240:243], v100 offset:15360
	;; [unrolled: 1-line block ×14, first 2 shown]
	s_and_saveexec_b32 s1, s0
	s_cbranch_execz .LBB0_13
; %bb.12:
	ds_read_b128 v[224:227], v100 offset:7200
	ds_read_b128 v[16:19], v100 offset:14880
	;; [unrolled: 1-line block ×3, first 2 shown]
.LBB0_13:
	s_or_b32 exec_lo, exec_lo, s1
	v_add_co_u32 v29, s1, 0x1800, v25
	v_add_co_ci_u32_e64 v30, s1, 0, v26, s1
	v_add_co_u32 v25, s1, 0x1d60, v25
	v_add_co_ci_u32_e64 v26, s1, 0, v26, s1
	global_load_dwordx4 v[128:131], v[29:30], off offset:1376
	v_lshlrev_b64 v[23:24], 5, v[23:24]
	global_load_dwordx4 v[132:135], v[25:26], off offset:16
	v_lshlrev_b32_e32 v25, 5, v251
	v_add_co_u32 v29, s1, s4, v25
	v_add_co_ci_u32_e64 v30, null, s5, 0, s1
	v_add_co_u32 v25, s1, 0x1800, v29
	v_add_co_ci_u32_e64 v26, s1, 0, v30, s1
	global_load_dwordx4 v[144:147], v[25:26], off offset:1376
	v_add_co_u32 v25, s1, 0x1d60, v29
	v_add_co_ci_u32_e64 v26, s1, 0, v30, s1
	global_load_dwordx4 v[148:151], v[25:26], off offset:16
	v_lshl_add_u32 v25, v22, 5, 0x1680
	v_add_co_u32 v29, s1, s4, v25
	v_add_co_ci_u32_e64 v30, null, s5, 0, s1
	v_add_co_u32 v25, s1, 0x1800, v29
	v_add_co_ci_u32_e64 v26, s1, 0, v30, s1
	global_load_dwordx4 v[152:155], v[25:26], off offset:1376
	v_add_co_u32 v25, s1, 0x1d60, v29
	v_add_co_ci_u32_e64 v26, s1, 0, v30, s1
	global_load_dwordx4 v[156:159], v[25:26], off offset:16
	v_lshlrev_b64 v[25:26], 5, v[248:249]
	v_add_co_u32 v29, s1, s4, v25
	v_add_co_ci_u32_e64 v30, s1, s5, v26, s1
	v_add_co_u32 v25, s1, 0x1800, v29
	v_add_co_ci_u32_e64 v26, s1, 0, v30, s1
	global_load_dwordx4 v[180:183], v[25:26], off offset:1376
	v_add_co_u32 v25, s1, 0x1d60, v29
	v_add_co_ci_u32_e64 v26, s1, 0, v30, s1
	global_load_dwordx4 v[188:191], v[25:26], off offset:16
	v_add_co_u32 v25, s1, s4, v23
	v_add_co_ci_u32_e64 v26, s1, s5, v24, s1
	v_add_co_u32 v23, s1, 0x1800, v25
	v_add_co_ci_u32_e64 v24, s1, 0, v26, s1
	global_load_dwordx4 v[196:199], v[23:24], off offset:1376
	v_add_co_u32 v23, s1, 0x1d60, v25
	v_add_co_ci_u32_e64 v24, s1, 0, v26, s1
	v_add_co_u32 v66, s1, 0xffffffe2, v22
	v_add_co_ci_u32_e64 v67, null, 0, -1, s1
	global_load_dwordx4 v[200:203], v[23:24], off offset:16
	v_cndmask_b32_e64 v27, v66, v27, s0
	v_cndmask_b32_e64 v28, v67, v28, s0
	v_lshlrev_b64 v[27:28], 5, v[27:28]
	v_add_co_u32 v78, s1, s4, v27
	v_add_co_ci_u32_e64 v79, s1, s5, v28, s1
	s_mov_b32 s5, 0xbfebb67a
	v_add_co_u32 v27, s1, 0x1800, v78
	v_add_co_ci_u32_e64 v28, s1, 0, v79, s1
	s_mov_b32 s4, s2
	global_load_dwordx4 v[80:83], v[27:28], off offset:1376
	v_add_co_u32 v27, s1, 0x1d60, v78
	v_add_co_ci_u32_e64 v28, s1, 0, v79, s1
	global_load_dwordx4 v[84:87], v[27:28], off offset:16
	s_waitcnt vmcnt(11) lgkmcnt(4)
	v_mul_f64 v[23:24], v[246:247], v[130:131]
	v_mul_f64 v[25:26], v[244:245], v[130:131]
	s_waitcnt vmcnt(10)
	v_mul_f64 v[29:30], v[242:243], v[134:135]
	v_mul_f64 v[31:32], v[240:241], v[134:135]
	s_waitcnt vmcnt(9)
	v_mul_f64 v[33:34], v[238:239], v[146:147]
	v_fma_f64 v[23:24], v[244:245], v[128:129], -v[23:24]
	v_fma_f64 v[25:26], v[246:247], v[128:129], v[25:26]
	v_mul_f64 v[35:36], v[236:237], v[146:147]
	v_fma_f64 v[29:30], v[240:241], v[132:133], -v[29:30]
	v_fma_f64 v[31:32], v[242:243], v[132:133], v[31:32]
	s_waitcnt vmcnt(8)
	v_mul_f64 v[37:38], v[230:231], v[150:151]
	v_mul_f64 v[39:40], v[228:229], v[150:151]
	v_fma_f64 v[33:34], v[236:237], v[144:145], -v[33:34]
	v_fma_f64 v[35:36], v[238:239], v[144:145], v[35:36]
	s_waitcnt vmcnt(7)
	v_mul_f64 v[41:42], v[218:219], v[154:155]
	;; [unrolled: 5-line block ×3, first 2 shown]
	v_mul_f64 v[52:53], v[220:221], v[158:159]
	v_fma_f64 v[41:42], v[216:217], v[152:153], -v[41:42]
	v_fma_f64 v[43:44], v[218:219], v[152:153], v[43:44]
	s_waitcnt vmcnt(5) lgkmcnt(2)
	v_mul_f64 v[54:55], v[234:235], v[182:183]
	v_mul_f64 v[56:57], v[232:233], v[182:183]
	v_fma_f64 v[45:46], v[220:221], v[156:157], -v[45:46]
	v_fma_f64 v[52:53], v[222:223], v[156:157], v[52:53]
	s_waitcnt vmcnt(4)
	v_mul_f64 v[58:59], v[214:215], v[190:191]
	v_mul_f64 v[60:61], v[212:213], v[190:191]
	s_waitcnt vmcnt(3) lgkmcnt(1)
	v_mul_f64 v[62:63], v[142:143], v[198:199]
	v_mul_f64 v[64:65], v[140:141], v[198:199]
	v_fma_f64 v[54:55], v[232:233], v[180:181], -v[54:55]
	v_fma_f64 v[56:57], v[234:235], v[180:181], v[56:57]
	s_waitcnt vmcnt(2) lgkmcnt(0)
	v_mul_f64 v[66:67], v[138:139], v[202:203]
	v_mul_f64 v[76:77], v[136:137], v[202:203]
	v_fma_f64 v[58:59], v[212:213], v[188:189], -v[58:59]
	v_fma_f64 v[60:61], v[214:215], v[188:189], v[60:61]
	v_fma_f64 v[62:63], v[140:141], v[196:197], -v[62:63]
	v_fma_f64 v[64:65], v[142:143], v[196:197], v[64:65]
	;; [unrolled: 2-line block ×3, first 2 shown]
	s_waitcnt vmcnt(1)
	v_mul_f64 v[27:28], v[18:19], v[82:83]
	v_fma_f64 v[78:79], v[16:17], v[80:81], -v[27:28]
	v_mul_f64 v[16:17], v[16:17], v[82:83]
	buffer_store_dword v80, off, s[24:27], 0 offset:440 ; 4-byte Folded Spill
	buffer_store_dword v81, off, s[24:27], 0 offset:444 ; 4-byte Folded Spill
	buffer_store_dword v82, off, s[24:27], 0 offset:448 ; 4-byte Folded Spill
	buffer_store_dword v83, off, s[24:27], 0 offset:452 ; 4-byte Folded Spill
	v_fma_f64 v[80:81], v[18:19], v[80:81], v[16:17]
	s_waitcnt vmcnt(0)
	v_mul_f64 v[16:17], v[210:211], v[86:87]
	v_fma_f64 v[82:83], v[208:209], v[84:85], -v[16:17]
	v_mul_f64 v[16:17], v[208:209], v[86:87]
	buffer_store_dword v84, off, s[24:27], 0 offset:456 ; 4-byte Folded Spill
	buffer_store_dword v85, off, s[24:27], 0 offset:460 ; 4-byte Folded Spill
	;; [unrolled: 1-line block ×4, first 2 shown]
	v_fma_f64 v[136:137], v[210:211], v[84:85], v[16:17]
	v_add_f64 v[16:17], v[23:24], v[29:30]
	v_fma_f64 v[18:19], v[16:17], -0.5, v[12:13]
	v_add_f64 v[16:17], v[25:26], v[31:32]
	v_add_f64 v[12:13], v[12:13], v[23:24]
	v_fma_f64 v[27:28], v[16:17], -0.5, v[14:15]
	v_add_f64 v[14:15], v[14:15], v[25:26]
	v_add_f64 v[25:26], v[25:26], -v[31:32]
	v_add_f64 v[12:13], v[12:13], v[29:30]
	v_add_f64 v[29:30], v[23:24], -v[29:30]
	v_add_f64 v[14:15], v[14:15], v[31:32]
	v_fma_f64 v[16:17], v[25:26], s[2:3], v[18:19]
	v_fma_f64 v[23:24], v[25:26], s[4:5], v[18:19]
	;; [unrolled: 1-line block ×4, first 2 shown]
	v_add_f64 v[27:28], v[33:34], v[37:38]
	v_add_f64 v[31:32], v[204:205], v[33:34]
	v_fma_f64 v[138:139], v[27:28], -0.5, v[204:205]
	v_add_f64 v[27:28], v[35:36], v[39:40]
	v_fma_f64 v[140:141], v[27:28], -0.5, v[206:207]
	v_add_f64 v[27:28], v[206:207], v[35:36]
	v_add_f64 v[35:36], v[35:36], -v[39:40]
	v_add_f64 v[29:30], v[27:28], v[39:40]
	v_add_f64 v[39:40], v[41:42], v[45:46]
	;; [unrolled: 1-line block ×3, first 2 shown]
	v_add_f64 v[37:38], v[33:34], -v[37:38]
	v_fma_f64 v[31:32], v[35:36], s[2:3], v[138:139]
	v_fma_f64 v[35:36], v[35:36], s[4:5], v[138:139]
	v_fma_f64 v[138:139], v[39:40], -0.5, v[8:9]
	v_add_f64 v[39:40], v[43:44], v[52:53]
	v_fma_f64 v[33:34], v[37:38], s[4:5], v[140:141]
	v_fma_f64 v[37:38], v[37:38], s[2:3], v[140:141]
	v_add_f64 v[8:9], v[8:9], v[41:42]
	v_fma_f64 v[140:141], v[39:40], -0.5, v[10:11]
	v_add_f64 v[10:11], v[10:11], v[43:44]
	v_add_f64 v[43:44], v[43:44], -v[52:53]
	v_add_f64 v[8:9], v[8:9], v[45:46]
	v_add_f64 v[45:46], v[41:42], -v[45:46]
	v_add_f64 v[10:11], v[10:11], v[52:53]
	v_fma_f64 v[39:40], v[43:44], s[2:3], v[138:139]
	v_fma_f64 v[43:44], v[43:44], s[4:5], v[138:139]
	v_add_f64 v[52:53], v[54:55], v[58:59]
	v_add_f64 v[138:139], v[56:57], v[60:61]
	v_fma_f64 v[41:42], v[45:46], s[4:5], v[140:141]
	v_fma_f64 v[45:46], v[45:46], s[2:3], v[140:141]
	v_fma_f64 v[52:53], v[52:53], -0.5, v[4:5]
	v_fma_f64 v[138:139], v[138:139], -0.5, v[6:7]
	v_add_f64 v[6:7], v[6:7], v[56:57]
	v_add_f64 v[56:57], v[56:57], -v[60:61]
	v_add_f64 v[4:5], v[4:5], v[54:55]
	v_add_f64 v[54:55], v[54:55], -v[58:59]
	v_add_f64 v[6:7], v[6:7], v[60:61]
	v_fma_f64 v[204:205], v[56:57], s[2:3], v[52:53]
	v_fma_f64 v[208:209], v[56:57], s[4:5], v[52:53]
	v_add_f64 v[52:53], v[62:63], v[66:67]
	v_fma_f64 v[206:207], v[54:55], s[4:5], v[138:139]
	v_fma_f64 v[210:211], v[54:55], s[2:3], v[138:139]
	v_add_f64 v[54:55], v[64:65], v[76:77]
	v_add_f64 v[56:57], v[64:65], -v[76:77]
	v_add_f64 v[4:5], v[4:5], v[58:59]
	v_fma_f64 v[52:53], v[52:53], -0.5, v[0:1]
	v_add_f64 v[0:1], v[0:1], v[62:63]
	v_fma_f64 v[54:55], v[54:55], -0.5, v[2:3]
	v_add_f64 v[2:3], v[2:3], v[64:65]
	v_fma_f64 v[220:221], v[56:57], s[2:3], v[52:53]
	v_add_f64 v[216:217], v[0:1], v[66:67]
	v_add_f64 v[0:1], v[62:63], -v[66:67]
	v_fma_f64 v[212:213], v[56:57], s[4:5], v[52:53]
	v_add_f64 v[218:219], v[2:3], v[76:77]
	v_add_f64 v[2:3], v[80:81], v[136:137]
	;; [unrolled: 1-line block ×3, first 2 shown]
	v_add_f64 v[56:57], v[80:81], -v[136:137]
	v_fma_f64 v[222:223], v[0:1], s[4:5], v[54:55]
	v_fma_f64 v[214:215], v[0:1], s[2:3], v[54:55]
	v_add_f64 v[0:1], v[78:79], v[82:83]
	v_fma_f64 v[2:3], v[2:3], -0.5, v[226:227]
	v_add_f64 v[54:55], v[224:225], v[78:79]
	v_add_f64 v[230:231], v[52:53], v[136:137]
	v_add_f64 v[52:53], v[78:79], -v[82:83]
	ds_write_b128 v100, v[12:15]
	ds_write_b128 v100, v[16:19] offset:7680
	ds_write_b128 v100, v[23:26] offset:15360
	;; [unrolled: 1-line block ×14, first 2 shown]
	v_fma_f64 v[0:1], v[0:1], -0.5, v[224:225]
	v_add_f64 v[228:229], v[54:55], v[82:83]
	v_fma_f64 v[226:227], v[52:53], s[4:5], v[2:3]
	v_fma_f64 v[234:235], v[52:53], s[2:3], v[2:3]
	;; [unrolled: 1-line block ×4, first 2 shown]
	s_and_saveexec_b32 s1, s0
	s_cbranch_execz .LBB0_15
; %bb.14:
	ds_write_b128 v100, v[228:231] offset:7200
	ds_write_b128 v100, v[224:227] offset:14880
	;; [unrolled: 1-line block ×3, first 2 shown]
.LBB0_15:
	s_or_b32 exec_lo, exec_lo, s1
	v_lshlrev_b32_e32 v2, 4, v22
	s_add_u32 s2, s12, 0x5a00
	s_addc_u32 s3, s13, 0
	s_waitcnt lgkmcnt(0)
	s_waitcnt_vscnt null, 0x0
	s_barrier
	v_add_co_u32 v0, s1, s2, v2
	v_add_co_ci_u32_e64 v1, null, s3, 0, s1
	buffer_gl0_inv
	v_add_co_u32 v14, s1, 0x800, v0
	v_add_co_ci_u32_e64 v15, s1, 0, v1, s1
	v_add_co_u32 v12, s1, 0x1000, v0
	s_clause 0x2
	global_load_dwordx4 v[16:19], v250, s[2:3]
	global_load_dwordx4 v[23:26], v2, s[2:3]
	global_load_dwordx4 v[27:30], v[14:15], off offset:256
	v_add_co_ci_u32_e64 v13, s1, 0, v1, s1
	v_add_co_u32 v2, s1, 0x1800, v0
	v_add_co_ci_u32_e64 v3, s1, 0, v1, s1
	v_add_co_u32 v10, s1, 0x2000, v0
	;; [unrolled: 2-line block ×4, first 2 shown]
	v_add_co_ci_u32_e64 v7, s1, 0, v1, s1
	s_clause 0x4
	global_load_dwordx4 v[31:34], v[12:13], off offset:512
	global_load_dwordx4 v[35:38], v[2:3], off offset:768
	;; [unrolled: 1-line block ×5, first 2 shown]
	v_add_co_u32 v2, s1, 0x3800, v0
	v_add_co_ci_u32_e64 v3, s1, 0, v1, s1
	v_add_co_u32 v4, s1, 0x5000, v0
	v_add_co_ci_u32_e64 v5, s1, 0, v1, s1
	s_clause 0x1
	global_load_dwordx4 v[140:143], v[2:3], off offset:1792
	global_load_dwordx4 v[236:239], v[4:5], off offset:256
	ds_read_b128 v[240:243], v100 offset:18432
	ds_read_b128 v[244:247], v100
	ds_read_b128 v[248:251], v100 offset:2304
	ds_read_b128 v[252:255], v100 offset:4608
	;; [unrolled: 1-line block ×8, first 2 shown]
	s_waitcnt vmcnt(9) lgkmcnt(9)
	v_mul_f64 v[101:102], v[242:243], v[18:19]
	v_mul_f64 v[18:19], v[240:241], v[18:19]
	s_waitcnt vmcnt(8) lgkmcnt(8)
	v_mul_f64 v[84:85], v[246:247], v[25:26]
	v_mul_f64 v[25:26], v[244:245], v[25:26]
	;; [unrolled: 3-line block ×7, first 2 shown]
	v_fma_f64 v[240:241], v[240:241], v[16:17], -v[101:102]
	v_fma_f64 v[242:243], v[242:243], v[16:17], v[18:19]
	s_waitcnt vmcnt(2) lgkmcnt(1)
	v_mul_f64 v[101:102], v[78:79], v[138:139]
	v_fma_f64 v[16:17], v[244:245], v[23:24], -v[84:85]
	v_mul_f64 v[84:85], v[76:77], v[138:139]
	v_fma_f64 v[18:19], v[246:247], v[23:24], v[25:26]
	s_waitcnt vmcnt(1) lgkmcnt(0)
	v_mul_f64 v[138:139], v[82:83], v[142:143]
	v_mul_f64 v[142:143], v[80:81], v[142:143]
	s_waitcnt vmcnt(0)
	v_mul_f64 v[244:245], v[58:59], v[238:239]
	v_fma_f64 v[23:24], v[248:249], v[27:28], -v[86:87]
	v_mul_f64 v[86:87], v[56:57], v[238:239]
	v_fma_f64 v[25:26], v[250:251], v[27:28], v[29:30]
	v_fma_f64 v[27:28], v[252:253], v[31:32], -v[88:89]
	v_fma_f64 v[29:30], v[254:255], v[31:32], v[33:34]
	v_fma_f64 v[31:32], v[52:53], v[35:36], -v[90:91]
	;; [unrolled: 2-line block ×7, first 2 shown]
	v_fma_f64 v[58:59], v[58:59], v[236:237], v[86:87]
	ds_write_b128 v100, v[240:243] offset:18432
	ds_write_b128 v100, v[16:19]
	ds_write_b128 v100, v[23:26] offset:2304
	ds_write_b128 v100, v[27:30] offset:4608
	;; [unrolled: 1-line block ×8, first 2 shown]
	s_and_saveexec_b32 s2, vcc_lo
	s_cbranch_execz .LBB0_17
; %bb.16:
	v_add_co_u32 v35, s1, 0x4000, v0
	v_add_co_ci_u32_e64 v36, s1, 0, v1, s1
	v_add_co_u32 v39, s1, 0x4800, v0
	s_clause 0x5
	global_load_dwordx4 v[16:19], v[0:1], off offset:1440
	global_load_dwordx4 v[23:26], v[14:15], off offset:1696
	;; [unrolled: 1-line block ×6, first 2 shown]
	v_add_co_ci_u32_e64 v40, s1, 0, v1, s1
	s_clause 0x3
	global_load_dwordx4 v[0:3], v[2:3], off offset:928
	global_load_dwordx4 v[4:7], v[4:5], off offset:1696
	;; [unrolled: 1-line block ×4, first 2 shown]
	ds_read_b128 v[43:46], v100 offset:1440
	ds_read_b128 v[52:55], v100 offset:3744
	;; [unrolled: 1-line block ×10, first 2 shown]
	s_waitcnt vmcnt(9) lgkmcnt(9)
	v_mul_f64 v[84:85], v[45:46], v[18:19]
	v_mul_f64 v[18:19], v[43:44], v[18:19]
	s_waitcnt vmcnt(8) lgkmcnt(8)
	v_mul_f64 v[86:87], v[54:55], v[25:26]
	v_mul_f64 v[25:26], v[52:53], v[25:26]
	s_waitcnt vmcnt(7) lgkmcnt(7)
	v_mul_f64 v[88:89], v[58:59], v[14:15]
	v_mul_f64 v[90:91], v[56:57], v[14:15]
	s_waitcnt vmcnt(6) lgkmcnt(6)
	v_mul_f64 v[92:93], v[62:63], v[29:30]
	v_mul_f64 v[29:30], v[60:61], v[29:30]
	s_waitcnt vmcnt(5) lgkmcnt(5)
	v_mul_f64 v[94:95], v[66:67], v[10:11]
	v_mul_f64 v[101:102], v[64:65], v[10:11]
	s_waitcnt vmcnt(4) lgkmcnt(4)
	v_mul_f64 v[240:241], v[78:79], v[33:34]
	v_mul_f64 v[33:34], v[76:77], v[33:34]
	s_waitcnt vmcnt(3) lgkmcnt(3)
	v_mul_f64 v[242:243], v[82:83], v[2:3]
	v_mul_f64 v[2:3], v[80:81], v[2:3]
	s_waitcnt vmcnt(1) lgkmcnt(1)
	v_mul_f64 v[246:247], v[142:143], v[37:38]
	v_mul_f64 v[37:38], v[140:141], v[37:38]
	s_waitcnt vmcnt(0) lgkmcnt(0)
	v_mul_f64 v[248:249], v[238:239], v[41:42]
	v_mul_f64 v[250:251], v[236:237], v[41:42]
	v_mul_f64 v[244:245], v[138:139], v[6:7]
	v_mul_f64 v[252:253], v[136:137], v[6:7]
	v_fma_f64 v[14:15], v[43:44], v[16:17], -v[84:85]
	v_fma_f64 v[16:17], v[45:46], v[16:17], v[18:19]
	v_fma_f64 v[41:42], v[52:53], v[23:24], -v[86:87]
	v_fma_f64 v[43:44], v[54:55], v[23:24], v[25:26]
	;; [unrolled: 2-line block ×10, first 2 shown]
	ds_write_b128 v100, v[14:17] offset:1440
	ds_write_b128 v100, v[41:44] offset:3744
	;; [unrolled: 1-line block ×10, first 2 shown]
.LBB0_17:
	s_or_b32 exec_lo, exec_lo, s2
	s_waitcnt lgkmcnt(0)
	s_barrier
	buffer_gl0_inv
	ds_read_b128 v[8:11], v100
	ds_read_b128 v[4:7], v100 offset:2304
	ds_read_b128 v[16:19], v100 offset:4608
	;; [unrolled: 1-line block ×9, first 2 shown]
	s_and_saveexec_b32 s1, vcc_lo
	s_cbranch_execz .LBB0_19
; %bb.18:
	ds_read_b128 v[204:207], v100 offset:1440
	ds_read_b128 v[208:211], v100 offset:3744
	;; [unrolled: 1-line block ×10, first 2 shown]
.LBB0_19:
	s_or_b32 exec_lo, exec_lo, s1
	s_waitcnt lgkmcnt(7)
	v_add_f64 v[27:28], v[8:9], v[16:17]
	v_add_f64 v[29:30], v[10:11], v[18:19]
	s_waitcnt lgkmcnt(1)
	v_add_f64 v[31:32], v[16:17], v[240:241]
	v_add_f64 v[23:24], v[18:19], -v[242:243]
	v_add_f64 v[25:26], v[16:17], -v[12:13]
	v_add_f64 v[37:38], v[12:13], v[0:1]
	v_add_f64 v[39:40], v[18:19], v[242:243]
	;; [unrolled: 1-line block ×3, first 2 shown]
	v_add_f64 v[43:44], v[12:13], -v[16:17]
	v_add_f64 v[45:46], v[18:19], -v[14:15]
	v_add_f64 v[52:53], v[248:249], v[244:245]
	v_add_f64 v[54:55], v[250:251], v[246:247]
	s_waitcnt lgkmcnt(0)
	v_add_f64 v[56:57], v[252:253], v[236:237]
	v_add_f64 v[58:59], v[254:255], v[238:239]
	v_add_f64 v[18:19], v[14:15], -v[18:19]
	v_add_f64 v[60:61], v[14:15], -v[2:3]
	v_add_f64 v[62:63], v[12:13], -v[0:1]
	v_add_f64 v[33:34], v[4:5], v[252:253]
	v_add_f64 v[35:36], v[6:7], v[254:255]
	v_add_f64 v[64:65], v[240:241], -v[0:1]
	v_add_f64 v[66:67], v[254:255], -v[238:239]
	v_add_f64 v[76:77], v[252:253], -v[248:249]
	;; [unrolled: 5-line block ×3, first 2 shown]
	v_fma_f64 v[37:38], v[37:38], -0.5, v[8:9]
	v_fma_f64 v[8:9], v[31:32], -0.5, v[8:9]
	;; [unrolled: 1-line block ×3, first 2 shown]
	v_add_f64 v[41:42], v[252:253], -v[236:237]
	s_mov_b32 s18, 0x134454ff
	v_fma_f64 v[52:53], v[52:53], -0.5, v[4:5]
	v_fma_f64 v[54:55], v[54:55], -0.5, v[6:7]
	;; [unrolled: 1-line block ×4, first 2 shown]
	v_add_f64 v[56:57], v[236:237], -v[244:245]
	v_add_f64 v[58:59], v[254:255], -v[250:251]
	s_mov_b32 s19, 0xbfee6f0e
	s_mov_b32 s3, 0x3fee6f0e
	;; [unrolled: 1-line block ×3, first 2 shown]
	v_add_f64 v[33:34], v[33:34], v[248:249]
	v_add_f64 v[35:36], v[35:36], v[250:251]
	v_add_f64 v[78:79], v[250:251], -v[254:255]
	v_add_f64 v[0:1], v[12:13], v[0:1]
	v_add_f64 v[2:3], v[14:15], v[2:3]
	v_add_f64 v[12:13], v[238:239], -v[246:247]
	v_add_f64 v[14:15], v[248:249], -v[244:245]
	;; [unrolled: 1-line block ×4, first 2 shown]
	s_mov_b32 s20, 0x4755a5e
	s_mov_b32 s21, 0xbfe2cf23
	;; [unrolled: 1-line block ×4, first 2 shown]
	v_fma_f64 v[88:89], v[66:67], s[18:19], v[52:53]
	v_add_f64 v[16:17], v[16:17], -v[240:241]
	v_fma_f64 v[10:11], v[39:40], -0.5, v[10:11]
	v_add_f64 v[39:40], v[248:249], -v[252:253]
	v_add_f64 v[56:57], v[76:77], v[56:57]
	v_fma_f64 v[76:77], v[41:42], s[2:3], v[54:55]
	v_add_f64 v[84:85], v[244:245], -v[236:237]
	v_fma_f64 v[54:55], v[41:42], s[18:19], v[54:55]
	s_mov_b32 s12, 0x372fe950
	v_add_f64 v[33:34], v[33:34], v[244:245]
	v_add_f64 v[35:36], v[35:36], v[246:247]
	s_mov_b32 s13, 0x3fd3c6ef
	v_add_f64 v[0:1], v[0:1], v[240:241]
	v_add_f64 v[2:3], v[2:3], v[242:243]
	;; [unrolled: 1-line block ×3, first 2 shown]
	v_fma_f64 v[58:59], v[14:15], s[18:19], v[6:7]
	v_fma_f64 v[6:7], v[14:15], s[2:3], v[6:7]
	v_add_f64 v[78:79], v[78:79], v[86:87]
	v_fma_f64 v[86:87], v[82:83], s[2:3], v[4:5]
	v_fma_f64 v[4:5], v[82:83], s[18:19], v[4:5]
	;; [unrolled: 1-line block ×5, first 2 shown]
	v_add_f64 v[25:26], v[25:26], v[64:65]
	v_fma_f64 v[64:65], v[16:17], s[2:3], v[31:32]
	v_add_f64 v[29:30], v[45:46], v[29:30]
	v_fma_f64 v[37:38], v[23:24], s[2:3], v[37:38]
	v_fma_f64 v[76:77], v[14:15], s[4:5], v[76:77]
	v_add_f64 v[39:40], v[39:40], v[84:85]
	v_fma_f64 v[14:15], v[14:15], s[20:21], v[54:55]
	v_fma_f64 v[84:85], v[62:63], s[18:19], v[10:11]
	v_add_f64 v[33:34], v[33:34], v[236:237]
	v_add_f64 v[35:36], v[35:36], v[238:239]
	v_fma_f64 v[31:32], v[16:17], s[18:19], v[31:32]
	v_add_f64 v[27:28], v[43:44], v[27:28]
	v_add_f64 v[18:19], v[18:19], v[80:81]
	s_mov_b32 s22, 0x9b97f4a8
	v_fma_f64 v[58:59], v[41:42], s[4:5], v[58:59]
	v_fma_f64 v[6:7], v[41:42], s[20:21], v[6:7]
	s_mov_b32 s23, 0x3fe9e377
	v_fma_f64 v[45:46], v[66:67], s[20:21], v[86:87]
	v_fma_f64 v[86:87], v[60:61], s[18:19], v[8:9]
	;; [unrolled: 1-line block ×7, first 2 shown]
	s_mov_b32 s15, 0xbfd3c6ef
	s_mov_b32 s14, s12
	v_fma_f64 v[41:42], v[12:13], s[12:13], v[76:77]
	v_fma_f64 v[76:77], v[60:61], s[2:3], v[8:9]
	s_mov_b32 s17, 0xbfe9e377
	s_mov_b32 s16, s22
	v_add_f64 v[4:5], v[0:1], v[33:34]
	v_add_f64 v[8:9], v[0:1], -v[33:34]
	v_add_f64 v[10:11], v[2:3], -v[35:36]
	v_fma_f64 v[0:1], v[12:13], s[12:13], v[14:15]
	v_fma_f64 v[14:15], v[62:63], s[4:5], v[64:65]
	v_add_f64 v[64:65], v[230:231], v[234:235]
	v_fma_f64 v[58:59], v[78:79], s[12:13], v[58:59]
	v_fma_f64 v[78:79], v[78:79], s[12:13], v[6:7]
	v_add_f64 v[6:7], v[2:3], v[35:36]
	v_fma_f64 v[33:34], v[39:40], s[12:13], v[45:46]
	v_fma_f64 v[37:38], v[60:61], s[4:5], v[37:38]
	;; [unrolled: 1-line block ×4, first 2 shown]
	v_mul_f64 v[12:13], v[54:55], s[4:5]
	v_fma_f64 v[52:53], v[56:57], s[12:13], v[52:53]
	s_barrier
	buffer_gl0_inv
	v_mul_f64 v[2:3], v[41:42], s[20:21]
	v_fma_f64 v[45:46], v[23:24], s[20:21], v[76:77]
	v_fma_f64 v[23:24], v[23:24], s[4:5], v[86:87]
	v_add_f64 v[246:247], v[230:231], -v[234:235]
	v_add_f64 v[86:87], v[218:219], -v[214:215]
	;; [unrolled: 1-line block ×3, first 2 shown]
	ds_write_b128 v103, v[4:7]
	ds_write_b128 v103, v[8:11] offset:80
	v_mul_f64 v[35:36], v[58:59], s[18:19]
	v_mul_f64 v[43:44], v[58:59], s[12:13]
	v_fma_f64 v[58:59], v[16:17], s[4:5], v[84:85]
	v_fma_f64 v[16:17], v[16:17], s[20:21], v[88:89]
	v_mul_f64 v[66:67], v[78:79], s[18:19]
	v_mul_f64 v[76:77], v[78:79], s[14:15]
	;; [unrolled: 1-line block ×4, first 2 shown]
	v_fma_f64 v[12:13], v[41:42], s[22:23], v[12:13]
	v_fma_f64 v[54:55], v[54:55], s[22:23], v[2:3]
	v_fma_f64 v[41:42], v[25:26], s[12:13], v[90:91]
	v_fma_f64 v[62:63], v[29:30], s[12:13], v[14:15]
	v_fma_f64 v[78:79], v[27:28], s[12:13], v[23:24]
	v_fma_f64 v[0:1], v[64:65], -0.5, v[210:211]
	v_add_f64 v[2:3], v[220:221], -v[72:73]
	v_fma_f64 v[37:38], v[25:26], s[12:13], v[37:38]
	v_add_f64 v[8:9], v[222:223], -v[230:231]
	v_add_f64 v[10:11], v[228:229], -v[232:233]
	;; [unrolled: 1-line block ×3, first 2 shown]
	v_add_f64 v[84:85], v[72:73], v[220:221]
	v_add_f64 v[88:89], v[226:227], -v[70:71]
	v_fma_f64 v[35:36], v[33:34], s[12:13], v[35:36]
	v_fma_f64 v[33:34], v[33:34], s[2:3], v[43:44]
	;; [unrolled: 1-line block ×4, first 2 shown]
	v_add_f64 v[27:28], v[228:229], v[232:233]
	v_add_f64 v[58:59], v[74:75], v[222:223]
	v_fma_f64 v[18:19], v[18:19], s[12:13], v[16:17]
	v_fma_f64 v[64:65], v[39:40], s[14:15], v[66:67]
	;; [unrolled: 1-line block ×5, first 2 shown]
	v_add_f64 v[14:15], v[41:42], v[54:55]
	v_add_f64 v[16:17], v[62:63], v[12:13]
	v_add_f64 v[52:53], v[41:42], -v[54:55]
	v_add_f64 v[54:55], v[62:63], -v[12:13]
	;; [unrolled: 1-line block ×3, first 2 shown]
	v_fma_f64 v[82:83], v[2:3], s[2:3], v[0:1]
	v_fma_f64 v[66:67], v[29:30], s[12:13], v[31:32]
	v_fma_f64 v[244:245], v[84:85], -0.5, v[208:209]
	v_add_f64 v[84:85], v[224:225], -v[68:69]
	v_add_f64 v[23:24], v[43:44], v[35:36]
	v_add_f64 v[25:26], v[45:46], v[33:34]
	v_fma_f64 v[4:5], v[27:28], -0.5, v[208:209]
	v_fma_f64 v[12:13], v[58:59], -0.5, v[210:211]
	v_add_f64 v[56:57], v[43:44], -v[35:36]
	v_add_f64 v[58:59], v[45:46], -v[33:34]
	v_add_f64 v[27:28], v[78:79], v[64:65]
	v_add_f64 v[29:30], v[18:19], v[39:40]
	;; [unrolled: 1-line block ×3, first 2 shown]
	v_add_f64 v[60:61], v[78:79], -v[64:65]
	v_add_f64 v[62:63], v[18:19], -v[39:40]
	;; [unrolled: 1-line block ×5, first 2 shown]
	ds_write_b128 v103, v[14:17] offset:16
	v_add_f64 v[14:15], v[220:221], -v[228:229]
	v_add_f64 v[16:17], v[72:73], -v[232:233]
	v_add_f64 v[18:19], v[41:42], v[8:9]
	v_add_f64 v[39:40], v[224:225], v[212:213]
	;; [unrolled: 1-line block ×6, first 2 shown]
	ds_write_b128 v103, v[23:26] offset:32
	v_fma_f64 v[8:9], v[6:7], s[18:19], v[4:5]
	v_fma_f64 v[23:24], v[10:11], s[4:5], v[82:83]
	;; [unrolled: 1-line block ×3, first 2 shown]
	v_add_f64 v[66:67], v[66:67], -v[80:81]
	ds_write_b128 v103, v[27:30] offset:48
	ds_write_b128 v103, v[31:34] offset:64
	v_add_f64 v[27:28], v[228:229], -v[220:221]
	v_add_f64 v[76:77], v[232:233], -v[72:73]
	;; [unrolled: 1-line block ×4, first 2 shown]
	v_add_f64 v[31:32], v[37:38], v[35:36]
	v_add_f64 v[82:83], v[212:213], -v[216:217]
	v_add_f64 v[29:30], v[16:17], v[14:15]
	v_add_f64 v[14:15], v[70:71], -v[226:227]
	v_add_f64 v[16:17], v[214:215], -v[218:219]
	v_fma_f64 v[8:9], v[246:247], s[20:21], v[8:9]
	v_fma_f64 v[23:24], v[18:19], s[12:13], v[23:24]
	;; [unrolled: 1-line block ×4, first 2 shown]
	v_fma_f64 v[252:253], v[39:40], -0.5, v[204:205]
	v_fma_f64 v[254:255], v[41:42], -0.5, v[204:205]
	v_fma_f64 v[33:34], v[43:44], -0.5, v[206:207]
	v_fma_f64 v[35:36], v[45:46], -0.5, v[206:207]
	v_add_f64 v[39:40], v[216:217], -v[68:69]
	v_add_f64 v[45:46], v[214:215], -v[226:227]
	;; [unrolled: 1-line block ×3, first 2 shown]
	ds_write_b128 v103, v[52:55] offset:96
	ds_write_b128 v103, v[56:59] offset:112
	;; [unrolled: 1-line block ×4, first 2 shown]
	v_add_f64 v[41:42], v[76:77], v[27:28]
	v_add_f64 v[37:38], v[80:81], v[78:79]
	;; [unrolled: 1-line block ×5, first 2 shown]
	v_fma_f64 v[14:15], v[29:30], s[12:13], v[8:9]
	v_mul_f64 v[8:9], v[23:24], s[20:21]
	v_mul_f64 v[23:24], v[23:24], s[22:23]
	v_fma_f64 v[27:28], v[6:7], s[20:21], v[90:91]
	v_fma_f64 v[76:77], v[31:32], s[12:13], v[25:26]
	;; [unrolled: 1-line block ×9, first 2 shown]
	v_mul_f64 v[23:24], v[76:77], s[18:19]
	v_mul_f64 v[27:28], v[76:77], s[12:13]
	v_fma_f64 v[76:77], v[45:46], s[20:21], v[16:17]
	v_fma_f64 v[78:79], v[43:44], s[4:5], v[78:79]
	;; [unrolled: 1-line block ×10, first 2 shown]
	v_add_f64 v[236:237], v[14:15], -v[8:9]
	v_add_f64 v[238:239], v[248:249], -v[25:26]
	;; [unrolled: 1-line block ×4, first 2 shown]
	s_and_saveexec_b32 s1, vcc_lo
	s_cbranch_execz .LBB0_21
; %bb.20:
	v_mul_f64 v[52:53], v[2:3], s[2:3]
	v_mul_f64 v[54:55], v[10:11], s[2:3]
	;; [unrolled: 1-line block ×16, first 2 shown]
	v_add_f64 v[62:63], v[222:223], v[210:211]
	v_add_f64 v[64:65], v[220:221], v[208:209]
	v_add_f64 v[0:1], v[0:1], -v[52:53]
	v_add_f64 v[12:13], v[54:55], v[12:13]
	v_add_f64 v[4:5], v[56:57], v[4:5]
	v_add_f64 v[56:57], v[244:245], -v[58:59]
	v_add_f64 v[52:53], v[218:219], v[206:207]
	v_add_f64 v[54:55], v[216:217], v[204:205]
	v_add_f64 v[33:34], v[33:34], -v[60:61]
	v_add_f64 v[35:36], v[66:67], v[35:36]
	v_mul_f64 v[58:59], v[142:143], s[4:5]
	v_add_f64 v[60:61], v[230:231], v[62:63]
	v_add_f64 v[62:63], v[228:229], v[64:65]
	v_add_f64 v[0:1], v[0:1], -v[10:11]
	v_add_f64 v[2:3], v[12:13], -v[2:3]
	v_mul_f64 v[10:11], v[142:143], s[2:3]
	v_add_f64 v[4:5], v[76:77], v[4:5]
	v_add_f64 v[6:7], v[6:7], v[56:57]
	v_mul_f64 v[12:13], v[45:46], s[2:3]
	v_mul_f64 v[45:46], v[45:46], s[4:5]
	;; [unrolled: 1-line block ×3, first 2 shown]
	v_add_f64 v[33:34], v[33:34], -v[43:44]
	v_add_f64 v[35:36], v[35:36], -v[39:40]
	v_add_f64 v[52:53], v[214:215], v[52:53]
	v_add_f64 v[54:55], v[212:213], v[54:55]
	;; [unrolled: 1-line block ×6, first 2 shown]
	v_mul_f64 v[18:19], v[37:38], s[12:13]
	v_mul_f64 v[37:38], v[138:139], s[12:13]
	v_add_f64 v[4:5], v[29:30], v[4:5]
	v_add_f64 v[6:7], v[41:42], v[6:7]
	v_add_f64 v[12:13], v[254:255], -v[12:13]
	v_mul_f64 v[31:32], v[136:137], s[12:13]
	v_add_f64 v[35:36], v[56:57], v[35:36]
	v_add_f64 v[39:40], v[226:227], v[52:53]
	;; [unrolled: 1-line block ×5, first 2 shown]
	v_mul_f64 v[29:30], v[0:1], s[16:17]
	v_mul_f64 v[41:42], v[2:3], s[14:15]
	v_add_f64 v[10:11], v[45:46], v[10:11]
	v_mul_f64 v[2:3], v[2:3], s[2:3]
	v_add_f64 v[33:34], v[37:38], v[33:34]
	;; [unrolled: 2-line block ×3, first 2 shown]
	v_add_f64 v[39:40], v[70:71], v[39:40]
	v_add_f64 v[45:46], v[68:69], v[52:53]
	;; [unrolled: 1-line block ×3, first 2 shown]
	v_fma_f64 v[29:30], v[4:5], s[4:5], v[29:30]
	v_fma_f64 v[37:38], v[6:7], s[2:3], v[41:42]
	v_add_f64 v[41:42], v[18:19], v[10:11]
	v_fma_f64 v[56:57], v[6:7], s[14:15], -v[2:3]
	v_add_f64 v[6:7], v[248:249], v[25:26]
	v_fma_f64 v[58:59], v[4:5], s[16:17], -v[0:1]
	v_add_f64 v[4:5], v[14:15], v[8:9]
	v_add_f64 v[54:55], v[31:32], v[12:13]
	;; [unrolled: 1-line block ×5, first 2 shown]
	v_add_f64 v[10:11], v[39:40], -v[43:44]
	v_add_f64 v[12:13], v[52:53], v[45:46]
	v_add_f64 v[8:9], v[45:46], -v[52:53]
	v_add_f64 v[18:19], v[33:34], -v[29:30]
	v_add_f64 v[25:26], v[35:36], -v[37:38]
	v_add_f64 v[29:30], v[33:34], v[29:30]
	v_add_f64 v[33:34], v[35:36], v[37:38]
	buffer_load_dword v35, off, s[24:27], 0 offset:436 ; 4-byte Folded Reload
	v_add_f64 v[27:28], v[41:42], v[58:59]
	v_add_f64 v[16:17], v[41:42], -v[58:59]
	v_add_f64 v[31:32], v[54:55], v[56:57]
	v_add_f64 v[23:24], v[54:55], -v[56:57]
	s_waitcnt vmcnt(0)
	v_lshlrev_b32_e32 v35, 4, v35
	ds_write_b128 v35, v[236:239] offset:96
	ds_write_b128 v35, v[240:243] offset:112
	;; [unrolled: 1-line block ×4, first 2 shown]
	ds_write_b128 v35, v[12:15]
	ds_write_b128 v35, v[8:11] offset:80
	ds_write_b128 v35, v[31:34] offset:48
	ds_write_b128 v35, v[27:30] offset:64
	ds_write_b128 v35, v[23:26] offset:128
	ds_write_b128 v35, v[16:19] offset:144
.LBB0_21:
	s_or_b32 exec_lo, exec_lo, s1
	s_waitcnt lgkmcnt(0)
	s_barrier
	buffer_gl0_inv
	ds_read_b128 v[0:3], v100 offset:1440
	ds_read_b128 v[4:7], v100 offset:2880
	ds_read_b128 v[8:11], v100 offset:5760
	ds_read_b128 v[12:15], v100 offset:7200
	ds_read_b128 v[16:19], v100
	s_clause 0x3
	buffer_load_dword v68, off, s[24:27], 0 offset:276
	buffer_load_dword v69, off, s[24:27], 0 offset:280
	buffer_load_dword v70, off, s[24:27], 0 offset:284
	buffer_load_dword v71, off, s[24:27], 0 offset:288
	ds_read_b128 v[23:26], v100 offset:4320
	s_clause 0x3
	buffer_load_dword v72, off, s[24:27], 0 offset:260
	buffer_load_dword v73, off, s[24:27], 0 offset:264
	;; [unrolled: 1-line block ×4, first 2 shown]
	ds_read_b128 v[27:30], v100 offset:8640
	ds_read_b128 v[31:34], v100 offset:11520
	s_clause 0x3
	buffer_load_dword v76, off, s[24:27], 0 offset:244
	buffer_load_dword v77, off, s[24:27], 0 offset:248
	;; [unrolled: 1-line block ×4, first 2 shown]
	ds_read_b128 v[35:38], v100 offset:17280
	s_clause 0x3
	buffer_load_dword v80, off, s[24:27], 0 offset:324
	buffer_load_dword v81, off, s[24:27], 0 offset:328
	;; [unrolled: 1-line block ×4, first 2 shown]
	ds_read_b128 v[39:42], v100 offset:14400
	ds_read_b128 v[43:46], v100 offset:20160
	s_mov_b32 s2, 0x667f3bcd
	s_mov_b32 s3, 0xbfe6a09e
	;; [unrolled: 1-line block ×12, first 2 shown]
	s_waitcnt vmcnt(12) lgkmcnt(10)
	v_mul_f64 v[52:53], v[70:71], v[2:3]
	v_mul_f64 v[54:55], v[70:71], v[0:1]
	s_waitcnt vmcnt(8) lgkmcnt(9)
	v_mul_f64 v[56:57], v[74:75], v[6:7]
	v_mul_f64 v[58:59], v[74:75], v[4:5]
	;; [unrolled: 3-line block ×4, first 2 shown]
	v_fma_f64 v[52:53], v[68:69], v[0:1], v[52:53]
	v_fma_f64 v[54:55], v[68:69], v[2:3], -v[54:55]
	ds_read_b128 v[0:3], v100 offset:10080
	s_clause 0x3
	buffer_load_dword v84, off, s[24:27], 0 offset:308
	buffer_load_dword v85, off, s[24:27], 0 offset:312
	;; [unrolled: 1-line block ×4, first 2 shown]
	v_fma_f64 v[56:57], v[72:73], v[4:5], v[56:57]
	v_fma_f64 v[58:59], v[72:73], v[6:7], -v[58:59]
	ds_read_b128 v[4:7], v100 offset:12960
	v_fma_f64 v[60:61], v[76:77], v[8:9], v[60:61]
	v_fma_f64 v[62:63], v[76:77], v[10:11], -v[62:63]
	v_fma_f64 v[64:65], v[80:81], v[12:13], v[64:65]
	v_fma_f64 v[66:67], v[80:81], v[14:15], -v[66:67]
	s_waitcnt vmcnt(0) lgkmcnt(6)
	v_mul_f64 v[68:69], v[86:87], v[29:30]
	v_mul_f64 v[70:71], v[86:87], v[27:28]
	s_clause 0x3
	buffer_load_dword v86, off, s[24:27], 0 offset:340
	buffer_load_dword v87, off, s[24:27], 0 offset:344
	;; [unrolled: 1-line block ×4, first 2 shown]
	ds_read_b128 v[8:11], v100 offset:18720
	s_clause 0x3
	buffer_load_dword v90, off, s[24:27], 0 offset:404
	buffer_load_dword v91, off, s[24:27], 0 offset:408
	;; [unrolled: 1-line block ×4, first 2 shown]
	ds_read_b128 v[12:15], v100 offset:15840
	s_clause 0x3
	buffer_load_dword v140, off, s[24:27], 0 offset:388
	buffer_load_dword v141, off, s[24:27], 0 offset:392
	buffer_load_dword v142, off, s[24:27], 0 offset:396
	buffer_load_dword v143, off, s[24:27], 0 offset:400
	v_fma_f64 v[68:69], v[84:85], v[27:28], v[68:69]
	v_fma_f64 v[70:71], v[84:85], v[29:30], -v[70:71]
	ds_read_b128 v[27:30], v100 offset:21600
	s_clause 0x7
	buffer_load_dword v136, off, s[24:27], 0 offset:228
	buffer_load_dword v137, off, s[24:27], 0 offset:232
	;; [unrolled: 1-line block ×8, first 2 shown]
	s_waitcnt lgkmcnt(5)
	v_mul_f64 v[84:85], v[49:50], v[45:46]
	v_mul_f64 v[49:50], v[49:50], v[43:44]
	s_waitcnt lgkmcnt(0)
	v_mul_f64 v[94:95], v[106:107], v[27:28]
	v_fma_f64 v[43:44], v[47:48], v[43:44], v[84:85]
	v_fma_f64 v[45:46], v[47:48], v[45:46], -v[49:50]
	v_add_f64 v[43:44], v[68:69], -v[43:44]
	v_add_f64 v[45:46], v[70:71], -v[45:46]
	s_waitcnt vmcnt(16)
	v_mul_f64 v[72:73], v[88:89], v[33:34]
	v_mul_f64 v[74:75], v[88:89], v[31:32]
	s_waitcnt vmcnt(12)
	v_mul_f64 v[76:77], v[92:93], v[37:38]
	v_mul_f64 v[78:79], v[92:93], v[35:36]
	;; [unrolled: 3-line block ×3, first 2 shown]
	v_mul_f64 v[88:89], v[98:99], v[8:9]
	v_fma_f64 v[31:32], v[86:87], v[31:32], v[72:73]
	v_fma_f64 v[33:34], v[86:87], v[33:34], -v[74:75]
	s_waitcnt vmcnt(4)
	v_mul_f64 v[72:73], v[138:139], v[25:26]
	s_waitcnt vmcnt(0)
	v_mul_f64 v[74:75], v[206:207], v[6:7]
	v_fma_f64 v[35:36], v[90:91], v[35:36], v[76:77]
	v_mul_f64 v[76:77], v[206:207], v[4:5]
	v_fma_f64 v[37:38], v[90:91], v[37:38], -v[78:79]
	v_mul_f64 v[78:79], v[138:139], v[23:24]
	s_clause 0x3
	buffer_load_dword v206, off, s[24:27], 0 offset:372
	buffer_load_dword v207, off, s[24:27], 0 offset:376
	;; [unrolled: 1-line block ×4, first 2 shown]
	v_fma_f64 v[39:40], v[140:141], v[39:40], v[80:81]
	v_fma_f64 v[41:42], v[140:141], v[41:42], -v[82:83]
	s_clause 0x3
	buffer_load_dword v138, off, s[24:27], 0 offset:292
	buffer_load_dword v139, off, s[24:27], 0 offset:296
	;; [unrolled: 1-line block ×4, first 2 shown]
	v_mul_f64 v[86:87], v[98:99], v[10:11]
	v_mul_f64 v[98:99], v[106:107], v[29:30]
	v_fma_f64 v[10:11], v[96:97], v[10:11], -v[88:89]
	v_fma_f64 v[29:30], v[104:105], v[29:30], -v[94:95]
	s_waitcnt vmcnt(0)
	s_barrier
	buffer_gl0_inv
	v_add_f64 v[31:32], v[16:17], -v[31:32]
	v_add_f64 v[33:34], v[18:19], -v[33:34]
	v_fma_f64 v[23:24], v[136:137], v[23:24], v[72:73]
	v_fma_f64 v[4:5], v[204:205], v[4:5], v[74:75]
	v_add_f64 v[35:36], v[60:61], -v[35:36]
	v_fma_f64 v[6:7], v[204:205], v[6:7], -v[76:77]
	v_add_f64 v[37:38], v[62:63], -v[37:38]
	v_fma_f64 v[25:26], v[136:137], v[25:26], -v[78:79]
	v_add_f64 v[39:40], v[56:57], -v[39:40]
	v_add_f64 v[41:42], v[58:59], -v[41:42]
	v_fma_f64 v[8:9], v[96:97], v[8:9], v[86:87]
	v_fma_f64 v[27:28], v[104:105], v[27:28], v[98:99]
	v_add_f64 v[10:11], v[66:67], -v[10:11]
	v_fma_f64 v[16:17], v[16:17], 2.0, -v[31:32]
	v_fma_f64 v[18:19], v[18:19], 2.0, -v[33:34]
	v_add_f64 v[4:5], v[52:53], -v[4:5]
	v_fma_f64 v[47:48], v[60:61], 2.0, -v[35:36]
	v_add_f64 v[6:7], v[54:55], -v[6:7]
	v_fma_f64 v[49:50], v[62:63], 2.0, -v[37:38]
	v_fma_f64 v[60:61], v[68:69], 2.0, -v[43:44]
	;; [unrolled: 1-line block ×5, first 2 shown]
	v_add_f64 v[37:38], v[31:32], v[37:38]
	v_add_f64 v[8:9], v[64:65], -v[8:9]
	v_add_f64 v[35:36], v[33:34], -v[35:36]
	v_fma_f64 v[66:67], v[66:67], 2.0, -v[10:11]
	v_add_f64 v[45:46], v[39:40], v[45:46]
	v_add_f64 v[43:44], v[41:42], -v[43:44]
	v_add_f64 v[10:11], v[4:5], v[10:11]
	v_fma_f64 v[52:53], v[52:53], 2.0, -v[4:5]
	v_fma_f64 v[54:55], v[54:55], 2.0, -v[6:7]
	v_fma_f64 v[31:32], v[31:32], 2.0, -v[37:38]
	v_fma_f64 v[64:65], v[64:65], 2.0, -v[8:9]
	v_add_f64 v[8:9], v[6:7], -v[8:9]
	v_fma_f64 v[33:34], v[33:34], 2.0, -v[35:36]
	v_fma_f64 v[39:40], v[39:40], 2.0, -v[45:46]
	;; [unrolled: 1-line block ×5, first 2 shown]
	v_fma_f64 v[76:77], v[39:40], s[2:3], v[31:32]
	v_fma_f64 v[78:79], v[41:42], s[2:3], v[33:34]
	v_mul_f64 v[90:91], v[208:209], v[14:15]
	v_mul_f64 v[92:93], v[208:209], v[12:13]
	;; [unrolled: 1-line block ×4, first 2 shown]
	v_fma_f64 v[12:13], v[206:207], v[12:13], v[90:91]
	v_fma_f64 v[14:15], v[206:207], v[14:15], -v[92:93]
	v_fma_f64 v[0:1], v[138:139], v[0:1], v[80:81]
	v_fma_f64 v[2:3], v[138:139], v[2:3], -v[82:83]
	v_add_f64 v[12:13], v[23:24], -v[12:13]
	v_add_f64 v[14:15], v[25:26], -v[14:15]
	;; [unrolled: 1-line block ×4, first 2 shown]
	v_fma_f64 v[23:24], v[23:24], 2.0, -v[12:13]
	v_fma_f64 v[25:26], v[25:26], 2.0, -v[14:15]
	v_add_f64 v[70:71], v[14:15], -v[27:28]
	v_add_f64 v[68:69], v[12:13], v[29:30]
	v_fma_f64 v[0:1], v[0:1], 2.0, -v[27:28]
	v_fma_f64 v[2:3], v[2:3], 2.0, -v[29:30]
	v_add_f64 v[27:28], v[16:17], -v[47:48]
	v_add_f64 v[29:30], v[18:19], -v[49:50]
	;; [unrolled: 1-line block ×6, first 2 shown]
	v_fma_f64 v[64:65], v[45:46], s[4:5], v[37:38]
	v_fma_f64 v[66:67], v[43:44], s[4:5], v[35:36]
	v_fma_f64 v[14:15], v[14:15], 2.0, -v[70:71]
	v_fma_f64 v[12:13], v[12:13], 2.0, -v[68:69]
	v_add_f64 v[0:1], v[23:24], -v[0:1]
	v_add_f64 v[2:3], v[25:26], -v[2:3]
	v_fma_f64 v[16:17], v[16:17], 2.0, -v[27:28]
	v_fma_f64 v[18:19], v[18:19], 2.0, -v[29:30]
	;; [unrolled: 1-line block ×4, first 2 shown]
	v_fma_f64 v[72:73], v[68:69], s[4:5], v[10:11]
	v_fma_f64 v[74:75], v[70:71], s[4:5], v[8:9]
	v_fma_f64 v[52:53], v[52:53], 2.0, -v[60:61]
	v_fma_f64 v[54:55], v[54:55], 2.0, -v[62:63]
	v_add_f64 v[49:50], v[27:28], v[49:50]
	v_add_f64 v[47:48], v[29:30], -v[47:48]
	v_fma_f64 v[43:44], v[43:44], s[4:5], v[64:65]
	v_fma_f64 v[45:46], v[45:46], s[2:3], v[66:67]
	;; [unrolled: 1-line block ×4, first 2 shown]
	v_fma_f64 v[23:24], v[23:24], 2.0, -v[0:1]
	v_fma_f64 v[25:26], v[25:26], 2.0, -v[2:3]
	v_add_f64 v[2:3], v[60:61], v[2:3]
	v_add_f64 v[0:1], v[62:63], -v[0:1]
	v_add_f64 v[56:57], v[16:17], -v[56:57]
	;; [unrolled: 1-line block ×3, first 2 shown]
	v_fma_f64 v[64:65], v[70:71], s[4:5], v[72:73]
	v_fma_f64 v[66:67], v[68:69], s[2:3], v[74:75]
	;; [unrolled: 1-line block ×4, first 2 shown]
	v_fma_f64 v[72:73], v[27:28], 2.0, -v[49:50]
	v_fma_f64 v[74:75], v[29:30], 2.0, -v[47:48]
	v_fma_f64 v[41:42], v[12:13], s[2:3], v[82:83]
	v_fma_f64 v[39:40], v[14:15], s[4:5], v[80:81]
	v_add_f64 v[12:13], v[52:53], -v[23:24]
	v_add_f64 v[14:15], v[54:55], -v[25:26]
	v_fma_f64 v[80:81], v[37:38], 2.0, -v[43:44]
	v_fma_f64 v[82:83], v[35:36], 2.0, -v[45:46]
	;; [unrolled: 1-line block ×10, first 2 shown]
	v_fma_f64 v[8:9], v[2:3], s[4:5], v[49:50]
	v_fma_f64 v[10:11], v[0:1], s[4:5], v[47:48]
	;; [unrolled: 1-line block ×4, first 2 shown]
	v_fma_f64 v[31:32], v[6:7], 2.0, -v[41:42]
	v_fma_f64 v[33:34], v[4:5], 2.0, -v[39:40]
	v_fma_f64 v[27:28], v[52:53], 2.0, -v[12:13]
	v_fma_f64 v[29:30], v[54:55], 2.0, -v[14:15]
	v_fma_f64 v[88:89], v[39:40], s[14:15], v[68:69]
	v_fma_f64 v[90:91], v[41:42], s[14:15], v[70:71]
	v_add_f64 v[4:5], v[56:57], v[14:15]
	v_add_f64 v[6:7], v[58:59], -v[12:13]
	v_fma_f64 v[52:53], v[18:19], s[2:3], v[72:73]
	v_fma_f64 v[54:55], v[16:17], s[2:3], v[74:75]
	;; [unrolled: 1-line block ×10, first 2 shown]
	v_add_f64 v[12:13], v[76:77], -v[27:28]
	v_add_f64 v[14:15], v[78:79], -v[29:30]
	v_fma_f64 v[27:28], v[41:42], s[16:17], v[88:89]
	v_fma_f64 v[29:30], v[39:40], s[12:13], v[90:91]
	v_fma_f64 v[35:36], v[56:57], 2.0, -v[4:5]
	v_fma_f64 v[37:38], v[58:59], 2.0, -v[6:7]
	v_fma_f64 v[16:17], v[16:17], s[4:5], v[52:53]
	v_fma_f64 v[18:19], v[18:19], s[2:3], v[54:55]
	;; [unrolled: 1-line block ×4, first 2 shown]
	v_fma_f64 v[39:40], v[49:50], 2.0, -v[8:9]
	v_fma_f64 v[41:42], v[47:48], 2.0, -v[10:11]
	;; [unrolled: 1-line block ×4, first 2 shown]
	v_fma_f64 v[33:34], v[33:34], s[18:19], v[94:95]
	v_fma_f64 v[31:32], v[31:32], s[14:15], v[92:93]
	v_fma_f64 v[47:48], v[76:77], 2.0, -v[12:13]
	v_fma_f64 v[49:50], v[78:79], 2.0, -v[14:15]
	;; [unrolled: 1-line block ×10, first 2 shown]
	ds_write_b128 v51, v[4:7] offset:1920
	ds_write_b128 v51, v[8:11] offset:2240
	;; [unrolled: 1-line block ×10, first 2 shown]
	ds_write_b128 v51, v[47:50]
	ds_write_b128 v51, v[52:55] offset:320
	ds_write_b128 v51, v[56:59] offset:480
	;; [unrolled: 1-line block ×5, first 2 shown]
	s_waitcnt lgkmcnt(0)
	s_barrier
	buffer_gl0_inv
	ds_read_b128 v[40:43], v100
	ds_read_b128 v[16:19], v100 offset:1440
	ds_read_b128 v[72:75], v100 offset:15360
	;; [unrolled: 1-line block ×14, first 2 shown]
	s_and_saveexec_b32 s1, s0
	s_cbranch_execz .LBB0_23
; %bb.22:
	ds_read_b128 v[0:3], v100 offset:7200
	ds_read_b128 v[236:239], v100 offset:14880
	;; [unrolled: 1-line block ×3, first 2 shown]
.LBB0_23:
	s_or_b32 exec_lo, exec_lo, s1
	s_waitcnt lgkmcnt(4)
	v_mul_f64 v[23:24], v[110:111], v[82:83]
	v_mul_f64 v[25:26], v[122:123], v[74:75]
	;; [unrolled: 1-line block ×12, first 2 shown]
	s_waitcnt lgkmcnt(2)
	v_mul_f64 v[94:95], v[162:163], v[56:57]
	s_mov_b32 s2, 0xe8584caa
	s_mov_b32 s3, 0xbfebb67a
	;; [unrolled: 1-line block ×4, first 2 shown]
	v_mul_f64 v[92:93], v[162:163], v[58:59]
	s_waitcnt lgkmcnt(0)
	s_barrier
	buffer_gl0_inv
	v_mul_f64 v[96:97], v[174:175], v[242:243]
	v_fma_f64 v[23:24], v[108:109], v[80:81], v[23:24]
	v_fma_f64 v[25:26], v[120:121], v[72:73], v[25:26]
	v_fma_f64 v[27:28], v[108:109], v[82:83], -v[27:28]
	v_fma_f64 v[29:30], v[120:121], v[74:75], -v[29:30]
	v_fma_f64 v[31:32], v[124:125], v[76:77], v[31:32]
	v_fma_f64 v[33:34], v[192:193], v[68:69], v[33:34]
	v_fma_f64 v[35:36], v[124:125], v[78:79], -v[35:36]
	v_fma_f64 v[37:38], v[192:193], v[70:71], -v[37:38]
	v_mul_f64 v[68:69], v[166:167], v[46:47]
	v_mul_f64 v[72:73], v[186:187], v[54:55]
	v_mul_f64 v[74:75], v[186:187], v[52:53]
	v_mul_f64 v[76:77], v[178:179], v[50:51]
	v_mul_f64 v[78:79], v[178:179], v[48:49]
	v_fma_f64 v[64:65], v[112:113], v[64:65], v[84:85]
	v_fma_f64 v[66:67], v[112:113], v[66:67], -v[86:87]
	v_mul_f64 v[70:71], v[166:167], v[44:45]
	v_mul_f64 v[80:81], v[170:171], v[238:239]
	v_fma_f64 v[60:61], v[116:117], v[60:61], v[88:89]
	v_fma_f64 v[62:63], v[116:117], v[62:63], -v[90:91]
	v_fma_f64 v[58:59], v[160:161], v[58:59], -v[94:95]
	v_mul_f64 v[82:83], v[170:171], v[236:237]
	v_mul_f64 v[98:99], v[174:175], v[240:241]
	v_fma_f64 v[56:57], v[160:161], v[56:57], v[92:93]
	v_add_f64 v[84:85], v[23:24], v[25:26]
	v_add_f64 v[86:87], v[27:28], v[29:30]
	;; [unrolled: 1-line block ×3, first 2 shown]
	v_add_f64 v[94:95], v[31:32], -v[33:34]
	v_add_f64 v[90:91], v[35:36], v[37:38]
	v_fma_f64 v[68:69], v[164:165], v[44:45], v[68:69]
	v_fma_f64 v[52:53], v[184:185], v[52:53], v[72:73]
	v_fma_f64 v[54:55], v[184:185], v[54:55], -v[74:75]
	v_fma_f64 v[72:73], v[176:177], v[48:49], v[76:77]
	v_fma_f64 v[74:75], v[176:177], v[50:51], -v[78:79]
	v_add_f64 v[44:45], v[40:41], v[23:24]
	v_add_f64 v[49:50], v[27:28], -v[29:30]
	v_add_f64 v[27:28], v[42:43], v[27:28]
	v_add_f64 v[78:79], v[16:17], v[31:32]
	v_fma_f64 v[70:71], v[164:165], v[46:47], -v[70:71]
	v_fma_f64 v[47:48], v[168:169], v[236:237], v[80:81]
	v_add_f64 v[80:81], v[18:19], v[35:36]
	v_fma_f64 v[76:77], v[172:173], v[240:241], v[96:97]
	v_fma_f64 v[82:83], v[168:169], v[238:239], -v[82:83]
	v_fma_f64 v[96:97], v[172:173], v[242:243], -v[98:99]
	v_fma_f64 v[39:40], v[84:85], -0.5, v[40:41]
	v_add_f64 v[84:85], v[23:24], -v[25:26]
	v_fma_f64 v[41:42], v[86:87], -0.5, v[42:43]
	v_add_f64 v[86:87], v[35:36], -v[37:38]
	v_fma_f64 v[88:89], v[88:89], -0.5, v[16:17]
	v_add_f64 v[92:93], v[12:13], v[64:65]
	v_fma_f64 v[90:91], v[90:91], -0.5, v[18:19]
	v_add_f64 v[98:99], v[64:65], v[60:61]
	v_add_f64 v[101:102], v[66:67], v[62:63]
	;; [unrolled: 1-line block ×8, first 2 shown]
	v_add_f64 v[78:79], v[66:67], -v[62:63]
	v_add_f64 v[66:67], v[14:15], v[66:67]
	v_add_f64 v[25:26], v[80:81], v[37:38]
	;; [unrolled: 1-line block ×5, first 2 shown]
	v_fma_f64 v[31:32], v[49:50], s[2:3], v[39:40]
	v_fma_f64 v[35:36], v[49:50], s[4:5], v[39:40]
	;; [unrolled: 1-line block ×5, first 2 shown]
	v_add_f64 v[27:28], v[92:93], v[60:61]
	v_add_f64 v[60:61], v[64:65], -v[60:61]
	v_fma_f64 v[49:50], v[98:99], -0.5, v[12:13]
	v_fma_f64 v[80:81], v[101:102], -0.5, v[14:15]
	v_fma_f64 v[41:42], v[94:95], s[4:5], v[90:91]
	v_fma_f64 v[43:44], v[86:87], s[4:5], v[88:89]
	v_fma_f64 v[45:46], v[94:95], s[2:3], v[90:91]
	v_add_f64 v[90:91], v[4:5], v[52:53]
	v_fma_f64 v[4:5], v[107:108], -0.5, v[4:5]
	v_add_f64 v[94:95], v[6:7], v[54:55]
	v_fma_f64 v[6:7], v[109:110], -0.5, v[6:7]
	v_add_f64 v[101:102], v[0:1], v[47:48]
	v_add_f64 v[109:110], v[47:48], -v[76:77]
	v_add_f64 v[64:65], v[8:9], v[56:57]
	v_add_f64 v[86:87], v[10:11], v[58:59]
	ds_write_b128 v100, v[16:19]
	ds_write_b128 v100, v[31:34] offset:2560
	ds_write_b128 v100, v[35:38] offset:5120
	buffer_load_dword v16, off, s[24:27], 0 offset:432 ; 4-byte Folded Reload
	v_fma_f64 v[107:108], v[29:30], -0.5, v[2:3]
	v_add_f64 v[29:30], v[66:67], v[62:63]
	v_fma_f64 v[8:9], v[103:104], -0.5, v[8:9]
	v_add_f64 v[84:85], v[58:59], -v[70:71]
	v_fma_f64 v[12:13], v[78:79], s[2:3], v[49:50]
	v_fma_f64 v[14:15], v[60:61], s[4:5], v[80:81]
	;; [unrolled: 1-line block ×4, first 2 shown]
	v_fma_f64 v[10:11], v[105:106], -0.5, v[10:11]
	v_add_f64 v[88:89], v[56:57], -v[68:69]
	v_add_f64 v[92:93], v[54:55], -v[74:75]
	;; [unrolled: 1-line block ×3, first 2 shown]
	v_fma_f64 v[103:104], v[111:112], -0.5, v[0:1]
	v_add_f64 v[105:106], v[82:83], -v[96:97]
	v_add_f64 v[82:83], v[2:3], v[82:83]
	v_add_f64 v[51:52], v[64:65], v[68:69]
	v_add_f64 v[53:54], v[86:87], v[70:71]
	v_add_f64 v[63:64], v[90:91], v[72:73]
	v_add_f64 v[65:66], v[94:95], v[74:75]
	v_add_f64 v[0:1], v[101:102], v[76:77]
	s_waitcnt vmcnt(0)
	ds_write_b128 v16, v[23:26]
	ds_write_b128 v16, v[39:42] offset:2560
	ds_write_b128 v16, v[43:46] offset:5120
	;; [unrolled: 1-line block ×5, first 2 shown]
	buffer_load_dword v12, off, s[24:27], 0 offset:428 ; 4-byte Folded Reload
	v_fma_f64 v[55:56], v[84:85], s[2:3], v[8:9]
	v_fma_f64 v[57:58], v[88:89], s[4:5], v[10:11]
	;; [unrolled: 1-line block ×10, first 2 shown]
	v_add_f64 v[2:3], v[82:83], v[96:97]
	v_fma_f64 v[6:7], v[109:110], s[4:5], v[107:108]
	v_fma_f64 v[10:11], v[109:110], s[2:3], v[107:108]
	s_waitcnt vmcnt(0)
	ds_write_b128 v12, v[51:54]
	ds_write_b128 v12, v[55:58] offset:2560
	ds_write_b128 v12, v[59:62] offset:5120
	buffer_load_dword v12, off, s[24:27], 0 offset:424 ; 4-byte Folded Reload
	s_waitcnt vmcnt(0)
	ds_write_b128 v12, v[63:66] offset:15360
	ds_write_b128 v12, v[67:70] offset:17920
	;; [unrolled: 1-line block ×3, first 2 shown]
	s_and_saveexec_b32 s1, s0
	s_cbranch_execz .LBB0_25
; %bb.24:
	buffer_load_dword v13, off, s[24:27], 0 offset:420 ; 4-byte Folded Reload
	v_mov_b32_e32 v12, 4
	s_waitcnt vmcnt(0)
	v_lshlrev_b32_sdwa v12, v12, v13 dst_sel:DWORD dst_unused:UNUSED_PAD src0_sel:DWORD src1_sel:WORD_0
	ds_write_b128 v12, v[0:3] offset:15360
	ds_write_b128 v12, v[4:7] offset:17920
	;; [unrolled: 1-line block ×3, first 2 shown]
.LBB0_25:
	s_or_b32 exec_lo, exec_lo, s1
	s_waitcnt lgkmcnt(0)
	s_barrier
	buffer_gl0_inv
	ds_read_b128 v[48:51], v100
	ds_read_b128 v[40:43], v100 offset:1440
	ds_read_b128 v[84:87], v100 offset:15360
	;; [unrolled: 1-line block ×14, first 2 shown]
	s_and_saveexec_b32 s1, s0
	s_cbranch_execz .LBB0_27
; %bb.26:
	ds_read_b128 v[0:3], v100 offset:7200
	ds_read_b128 v[4:7], v100 offset:14880
	;; [unrolled: 1-line block ×3, first 2 shown]
.LBB0_27:
	s_or_b32 exec_lo, exec_lo, s1
	s_waitcnt lgkmcnt(4)
	v_mul_f64 v[23:24], v[130:131], v[90:91]
	v_mul_f64 v[25:26], v[134:135], v[86:87]
	v_mul_f64 v[27:28], v[130:131], v[88:89]
	v_mul_f64 v[29:30], v[134:135], v[84:85]
	v_mul_f64 v[31:32], v[146:147], v[82:83]
	v_mul_f64 v[33:34], v[150:151], v[78:79]
	v_mul_f64 v[35:36], v[146:147], v[80:81]
	v_mul_f64 v[37:38], v[150:151], v[76:77]
	v_mul_f64 v[92:93], v[154:155], v[62:63]
	v_mul_f64 v[94:95], v[158:159], v[70:71]
	v_mul_f64 v[96:97], v[154:155], v[60:61]
	v_mul_f64 v[98:99], v[158:159], v[68:69]
	s_waitcnt lgkmcnt(2)
	v_mul_f64 v[101:102], v[182:183], v[74:75]
	v_mul_f64 v[103:104], v[182:183], v[72:73]
	;; [unrolled: 1-line block ×4, first 2 shown]
	s_waitcnt lgkmcnt(1)
	v_mul_f64 v[109:110], v[198:199], v[54:55]
	s_waitcnt lgkmcnt(0)
	v_mul_f64 v[111:112], v[202:203], v[58:59]
	s_mov_b32 s4, s2
	v_fma_f64 v[23:24], v[128:129], v[88:89], v[23:24]
	v_fma_f64 v[25:26], v[132:133], v[84:85], v[25:26]
	v_fma_f64 v[27:28], v[128:129], v[90:91], -v[27:28]
	v_fma_f64 v[29:30], v[132:133], v[86:87], -v[29:30]
	v_mul_f64 v[84:85], v[198:199], v[52:53]
	v_mul_f64 v[86:87], v[202:203], v[56:57]
	v_fma_f64 v[31:32], v[144:145], v[80:81], v[31:32]
	v_fma_f64 v[33:34], v[148:149], v[76:77], v[33:34]
	v_fma_f64 v[35:36], v[144:145], v[82:83], -v[35:36]
	v_fma_f64 v[37:38], v[148:149], v[78:79], -v[37:38]
	v_fma_f64 v[60:61], v[152:153], v[60:61], v[92:93]
	v_fma_f64 v[68:69], v[156:157], v[68:69], v[94:95]
	v_fma_f64 v[62:63], v[152:153], v[62:63], -v[96:97]
	v_fma_f64 v[70:71], v[156:157], v[70:71], -v[98:99]
	v_fma_f64 v[72:73], v[180:181], v[72:73], v[101:102]
	v_fma_f64 v[74:75], v[180:181], v[74:75], -v[103:104]
	v_fma_f64 v[64:65], v[188:189], v[64:65], v[105:106]
	v_fma_f64 v[66:67], v[188:189], v[66:67], -v[107:108]
	v_fma_f64 v[52:53], v[196:197], v[52:53], v[109:110]
	v_fma_f64 v[76:77], v[200:201], v[56:57], v[111:112]
	v_add_f64 v[56:57], v[23:24], v[25:26]
	v_add_f64 v[88:89], v[23:24], -v[25:26]
	v_add_f64 v[78:79], v[27:28], v[29:30]
	v_fma_f64 v[54:55], v[196:197], v[54:55], -v[84:85]
	v_fma_f64 v[80:81], v[200:201], v[58:59], -v[86:87]
	v_add_f64 v[58:59], v[48:49], v[23:24]
	v_add_f64 v[82:83], v[31:32], v[33:34]
	;; [unrolled: 1-line block ×4, first 2 shown]
	v_add_f64 v[92:93], v[35:36], -v[37:38]
	v_add_f64 v[23:24], v[60:61], v[68:69]
	v_add_f64 v[90:91], v[40:41], v[31:32]
	;; [unrolled: 1-line block ×3, first 2 shown]
	v_add_f64 v[96:97], v[31:32], -v[33:34]
	v_add_f64 v[84:85], v[27:28], -v[29:30]
	v_add_f64 v[31:32], v[72:73], v[64:65]
	v_add_f64 v[103:104], v[74:75], v[66:67]
	;; [unrolled: 1-line block ×3, first 2 shown]
	v_add_f64 v[101:102], v[62:63], -v[70:71]
	v_add_f64 v[105:106], v[52:53], v[76:77]
	v_add_f64 v[98:99], v[44:45], v[60:61]
	v_add_f64 v[60:61], v[60:61], -v[68:69]
	v_fma_f64 v[48:49], v[56:57], -0.5, v[48:49]
	v_add_f64 v[56:57], v[46:47], v[62:63]
	v_fma_f64 v[50:51], v[78:79], -0.5, v[50:51]
	v_add_f64 v[111:112], v[14:15], v[54:55]
	v_add_f64 v[62:63], v[54:55], v[80:81]
	v_add_f64 v[109:110], v[54:55], -v[80:81]
	v_fma_f64 v[39:40], v[82:83], -0.5, v[40:41]
	v_add_f64 v[78:79], v[16:17], v[72:73]
	v_fma_f64 v[41:42], v[86:87], -0.5, v[42:43]
	v_add_f64 v[82:83], v[74:75], -v[66:67]
	v_fma_f64 v[107:108], v[23:24], -0.5, v[44:45]
	v_add_f64 v[74:75], v[18:19], v[74:75]
	v_fma_f64 v[54:55], v[35:36], -0.5, v[46:47]
	v_add_f64 v[72:73], v[72:73], -v[64:65]
	v_add_f64 v[23:24], v[58:59], v[25:26]
	v_fma_f64 v[58:59], v[31:32], -0.5, v[16:17]
	v_add_f64 v[16:17], v[90:91], v[33:34]
	v_fma_f64 v[90:91], v[103:104], -0.5, v[18:19]
	v_add_f64 v[86:87], v[12:13], v[52:53]
	v_add_f64 v[25:26], v[27:28], v[29:30]
	v_fma_f64 v[103:104], v[105:106], -0.5, v[12:13]
	v_add_f64 v[18:19], v[94:95], v[37:38]
	v_fma_f64 v[27:28], v[84:85], s[2:3], v[48:49]
	v_fma_f64 v[31:32], v[84:85], s[4:5], v[48:49]
	v_fma_f64 v[29:30], v[88:89], s[4:5], v[50:51]
	v_fma_f64 v[33:34], v[88:89], s[2:3], v[50:51]
	v_fma_f64 v[84:85], v[62:63], -0.5, v[14:15]
	v_add_f64 v[88:89], v[52:53], -v[76:77]
	v_fma_f64 v[12:13], v[92:93], s[2:3], v[39:40]
	v_fma_f64 v[35:36], v[92:93], s[4:5], v[39:40]
	v_fma_f64 v[14:15], v[96:97], s[4:5], v[41:42]
	v_fma_f64 v[37:38], v[96:97], s[2:3], v[41:42]
	v_add_f64 v[39:40], v[98:99], v[68:69]
	v_add_f64 v[41:42], v[56:57], v[70:71]
	v_fma_f64 v[43:44], v[101:102], s[2:3], v[107:108]
	v_fma_f64 v[45:46], v[60:61], s[4:5], v[54:55]
	v_fma_f64 v[47:48], v[101:102], s[4:5], v[107:108]
	v_fma_f64 v[49:50], v[60:61], s[2:3], v[54:55]
	v_add_f64 v[51:52], v[78:79], v[64:65]
	v_add_f64 v[53:54], v[74:75], v[66:67]
	;; [unrolled: 6-line block ×3, first 2 shown]
	v_fma_f64 v[67:68], v[109:110], s[2:3], v[103:104]
	v_fma_f64 v[71:72], v[109:110], s[4:5], v[103:104]
	;; [unrolled: 1-line block ×4, first 2 shown]
	ds_write_b128 v100, v[23:26]
	ds_write_b128 v100, v[27:30] offset:7680
	ds_write_b128 v100, v[31:34] offset:15360
	;; [unrolled: 1-line block ×14, first 2 shown]
	s_and_saveexec_b32 s1, s0
	s_cbranch_execz .LBB0_29
; %bb.28:
	s_clause 0x7
	buffer_load_dword v23, off, s[24:27], 0 offset:440
	buffer_load_dword v24, off, s[24:27], 0 offset:444
	buffer_load_dword v25, off, s[24:27], 0 offset:448
	buffer_load_dword v26, off, s[24:27], 0 offset:452
	buffer_load_dword v27, off, s[24:27], 0 offset:456
	buffer_load_dword v28, off, s[24:27], 0 offset:460
	buffer_load_dword v29, off, s[24:27], 0 offset:464
	buffer_load_dword v30, off, s[24:27], 0 offset:468
	s_waitcnt vmcnt(4)
	v_mul_f64 v[12:13], v[25:26], v[4:5]
	s_waitcnt vmcnt(0)
	v_mul_f64 v[14:15], v[29:30], v[8:9]
	v_mul_f64 v[16:17], v[25:26], v[6:7]
	;; [unrolled: 1-line block ×3, first 2 shown]
	v_fma_f64 v[6:7], v[23:24], v[6:7], -v[12:13]
	v_fma_f64 v[10:11], v[27:28], v[10:11], -v[14:15]
	v_fma_f64 v[4:5], v[23:24], v[4:5], v[16:17]
	v_fma_f64 v[8:9], v[27:28], v[8:9], v[18:19]
	v_add_f64 v[18:19], v[2:3], v[6:7]
	v_add_f64 v[12:13], v[6:7], v[10:11]
	v_add_f64 v[23:24], v[6:7], -v[10:11]
	v_add_f64 v[14:15], v[4:5], v[8:9]
	v_add_f64 v[16:17], v[4:5], -v[8:9]
	v_add_f64 v[4:5], v[0:1], v[4:5]
	v_fma_f64 v[12:13], v[12:13], -0.5, v[2:3]
	v_add_f64 v[2:3], v[18:19], v[10:11]
	v_fma_f64 v[14:15], v[14:15], -0.5, v[0:1]
	v_add_f64 v[0:1], v[4:5], v[8:9]
	v_fma_f64 v[10:11], v[16:17], s[4:5], v[12:13]
	v_fma_f64 v[6:7], v[16:17], s[2:3], v[12:13]
	;; [unrolled: 1-line block ×4, first 2 shown]
	ds_write_b128 v100, v[0:3] offset:7200
	ds_write_b128 v100, v[8:11] offset:14880
	;; [unrolled: 1-line block ×3, first 2 shown]
.LBB0_29:
	s_or_b32 exec_lo, exec_lo, s1
	s_waitcnt lgkmcnt(0)
	s_barrier
	buffer_gl0_inv
	ds_read_b128 v[0:3], v100
	ds_read_b128 v[4:7], v100 offset:2304
	ds_read_b128 v[8:11], v100 offset:4608
	s_clause 0x1
	buffer_load_dword v12, off, s[24:27], 0 offset:32
	buffer_load_dword v13, off, s[24:27], 0 offset:36
	v_mad_u64_u32 v[37:38], null, s8, v22, 0
	s_mul_i32 s1, s9, 0x90
	s_mul_hi_u32 s4, s8, 0x90
	s_mul_i32 s0, s8, 0x90
	s_add_i32 s1, s4, s1
	s_mov_b32 s2, 0x16c16c17
	s_lshl_b64 s[4:5], s[0:1], 4
	v_mov_b32_e32 v28, v38
	s_mov_b32 s3, 0x3f46c16c
	s_waitcnt vmcnt(1)
	v_mov_b32_e32 v29, v12
	s_waitcnt vmcnt(0)
	ds_read_b128 v[12:15], v100 offset:6912
	s_clause 0x3
	buffer_load_dword v57, off, s[24:27], 0 offset:84
	buffer_load_dword v58, off, s[24:27], 0 offset:88
	;; [unrolled: 1-line block ×4, first 2 shown]
	v_mad_u64_u32 v[35:36], null, s10, v29, 0
	v_mov_b32_e32 v27, v36
	v_mad_u64_u32 v[51:52], null, s11, v29, v[27:28]
	v_mad_u64_u32 v[52:53], null, s9, v22, v[28:29]
	v_mov_b32_e32 v36, v51
	v_mov_b32_e32 v38, v52
	s_waitcnt vmcnt(0) lgkmcnt(3)
	v_mul_f64 v[39:40], v[59:60], v[2:3]
	v_mul_f64 v[41:42], v[59:60], v[0:1]
	s_clause 0x3
	buffer_load_dword v59, off, s[24:27], 0 offset:196
	buffer_load_dword v60, off, s[24:27], 0 offset:200
	;; [unrolled: 1-line block ×4, first 2 shown]
	ds_read_b128 v[16:19], v100 offset:9216
	ds_read_b128 v[23:26], v100 offset:11520
	v_fma_f64 v[0:1], v[57:58], v[0:1], v[39:40]
	v_fma_f64 v[39:40], v[57:58], v[2:3], -v[41:42]
	v_lshlrev_b64 v[2:3], 4, v[35:36]
	s_waitcnt vmcnt(0) lgkmcnt(4)
	v_mul_f64 v[43:44], v[61:62], v[6:7]
	v_mul_f64 v[45:46], v[61:62], v[4:5]
	s_clause 0x3
	buffer_load_dword v61, off, s[24:27], 0 offset:212
	buffer_load_dword v62, off, s[24:27], 0 offset:216
	;; [unrolled: 1-line block ×4, first 2 shown]
	ds_read_b128 v[27:30], v100 offset:13824
	ds_read_b128 v[31:34], v100 offset:16128
	v_fma_f64 v[41:42], v[59:60], v[4:5], v[43:44]
	v_lshlrev_b64 v[4:5], 4, v[37:38]
	v_fma_f64 v[43:44], v[59:60], v[6:7], -v[45:46]
	v_mul_f64 v[6:7], v[41:42], s[2:3]
	s_waitcnt vmcnt(0) lgkmcnt(5)
	v_mul_f64 v[47:48], v[63:64], v[10:11]
	v_mul_f64 v[49:50], v[63:64], v[8:9]
	s_clause 0x7
	buffer_load_dword v63, off, s[24:27], 0 offset:180
	buffer_load_dword v64, off, s[24:27], 0 offset:184
	;; [unrolled: 1-line block ×8, first 2 shown]
	v_fma_f64 v[47:48], v[61:62], v[8:9], v[47:48]
	v_fma_f64 v[49:50], v[61:62], v[10:11], -v[49:50]
	v_mul_f64 v[8:9], v[43:44], s[2:3]
	v_mul_f64 v[41:42], v[49:50], s[2:3]
	s_waitcnt vmcnt(4) lgkmcnt(4)
	v_mul_f64 v[53:54], v[65:66], v[14:15]
	v_mul_f64 v[55:56], v[65:66], v[12:13]
	s_clause 0x3
	buffer_load_dword v65, off, s[24:27], 0 offset:148
	buffer_load_dword v66, off, s[24:27], 0 offset:152
	;; [unrolled: 1-line block ×4, first 2 shown]
	s_waitcnt vmcnt(4) lgkmcnt(3)
	v_mul_f64 v[51:52], v[71:72], v[16:17]
	v_mul_f64 v[45:46], v[71:72], v[18:19]
	v_add_co_u32 v71, s0, s6, v2
	v_add_co_ci_u32_e64 v72, s0, s7, v3, s0
	v_mul_f64 v[2:3], v[0:1], s[2:3]
	v_add_co_u32 v61, s0, v71, v4
	v_add_co_ci_u32_e64 v62, s0, v72, v5, s0
	v_mul_f64 v[4:5], v[39:40], s[2:3]
	v_mul_f64 v[39:40], v[47:48], s[2:3]
	v_fma_f64 v[53:54], v[63:64], v[12:13], v[53:54]
	ds_read_b128 v[10:13], v100 offset:18432
	ds_read_b128 v[35:38], v100 offset:20736
	s_clause 0xb
	buffer_load_dword v83, off, s[24:27], 0 offset:132
	buffer_load_dword v84, off, s[24:27], 0 offset:136
	;; [unrolled: 1-line block ×12, first 2 shown]
	v_fma_f64 v[55:56], v[63:64], v[14:15], -v[55:56]
	v_fma_f64 v[18:19], v[69:70], v[18:19], -v[51:52]
	v_fma_f64 v[45:46], v[69:70], v[16:17], v[45:46]
	v_add_co_u32 v63, s0, v61, s4
	v_add_co_ci_u32_e64 v64, s0, s5, v62, s0
	v_add_co_u32 v49, s0, v63, s4
	v_add_co_ci_u32_e64 v50, s0, s5, v64, s0
	;; [unrolled: 2-line block ×3, first 2 shown]
	v_mul_f64 v[14:15], v[53:54], s[2:3]
	v_mul_f64 v[16:17], v[55:56], s[2:3]
	s_waitcnt vmcnt(12) lgkmcnt(4)
	v_mul_f64 v[57:58], v[67:68], v[25:26]
	v_mul_f64 v[59:60], v[67:68], v[23:24]
	v_fma_f64 v[51:52], v[65:66], v[23:24], v[57:58]
	s_waitcnt vmcnt(4) lgkmcnt(2)
	v_mul_f64 v[47:48], v[81:82], v[33:34]
	v_fma_f64 v[57:58], v[65:66], v[25:26], -v[59:60]
	v_mul_f64 v[59:60], v[81:82], v[31:32]
	s_waitcnt vmcnt(0) lgkmcnt(1)
	v_mul_f64 v[53:54], v[75:76], v[12:13]
	v_mul_f64 v[55:56], v[75:76], v[10:11]
	s_clause 0x3
	buffer_load_dword v75, off, s[24:27], 0 offset:100
	buffer_load_dword v76, off, s[24:27], 0 offset:104
	;; [unrolled: 1-line block ×4, first 2 shown]
	v_mul_f64 v[24:25], v[18:19], s[2:3]
	v_mul_f64 v[0:1], v[85:86], v[29:30]
	;; [unrolled: 1-line block ×4, first 2 shown]
	v_fma_f64 v[18:19], v[79:80], v[31:32], v[47:48]
	v_add_co_u32 v47, s0, v69, s4
	v_fma_f64 v[32:33], v[79:80], v[33:34], -v[59:60]
	buffer_load_dword v34, off, s[24:27], 0 offset:64 ; 4-byte Folded Reload
	v_add_co_ci_u32_e64 v48, s0, s5, v70, s0
	v_fma_f64 v[0:1], v[83:84], v[27:28], v[0:1]
	v_fma_f64 v[43:44], v[83:84], v[29:30], -v[43:44]
	v_fma_f64 v[45:46], v[73:74], v[10:11], v[53:54]
	v_fma_f64 v[53:54], v[73:74], v[12:13], -v[55:56]
	v_mul_f64 v[28:29], v[57:58], s[2:3]
	v_mul_f64 v[26:27], v[51:52], s[2:3]
	v_add_co_u32 v51, s0, v47, s4
	v_add_co_ci_u32_e64 v52, s0, s5, v48, s0
	global_store_dwordx4 v[61:62], v[2:5], off
	global_store_dwordx4 v[63:64], v[6:9], off
	;; [unrolled: 1-line block ×5, first 2 shown]
	v_mul_f64 v[30:31], v[18:19], s[2:3]
	v_mul_f64 v[32:33], v[32:33], s[2:3]
	;; [unrolled: 1-line block ×4, first 2 shown]
	s_waitcnt vmcnt(1) lgkmcnt(0)
	v_mul_f64 v[65:66], v[77:78], v[37:38]
	v_mul_f64 v[67:68], v[77:78], v[35:36]
	s_waitcnt vmcnt(0)
	v_mad_u64_u32 v[59:60], null, s8, v34, 0
	v_fma_f64 v[55:56], v[75:76], v[35:36], v[65:66]
	v_fma_f64 v[57:58], v[75:76], v[37:38], -v[67:68]
	v_add_co_u32 v65, s0, v51, s4
	v_add_co_ci_u32_e64 v66, s0, s5, v52, s0
	v_mov_b32_e32 v0, v60
	v_add_co_u32 v18, s0, v65, s4
	v_add_co_ci_u32_e64 v19, s0, s5, v66, s0
	v_mad_u64_u32 v[67:68], null, s9, v34, v[0:1]
	v_mul_f64 v[34:35], v[45:46], s[2:3]
	v_mad_u64_u32 v[0:1], null, 0x1200, s8, v[18:19]
	v_mul_f64 v[36:37], v[53:54], s[2:3]
	v_mov_b32_e32 v60, v67
	v_mul_f64 v[43:44], v[55:56], s[2:3]
	v_mul_f64 v[45:46], v[57:58], s[2:3]
	v_lshlrev_b64 v[2:3], 4, v[59:60]
	v_mad_u64_u32 v[4:5], null, 0x1200, s9, v[1:2]
	v_add_co_u32 v2, s0, v71, v2
	v_add_co_ci_u32_e64 v3, s0, v72, v3, s0
	v_mov_b32_e32 v1, v4
	global_store_dwordx4 v[51:52], v[26:29], off
	global_store_dwordx4 v[65:66], v[10:13], off
	;; [unrolled: 1-line block ×5, first 2 shown]
	s_and_b32 exec_lo, exec_lo, vcc_lo
	s_cbranch_execz .LBB0_31
; %bb.30:
	global_load_dwordx4 v[2:5], v[20:21], off offset:1440
	ds_read_b128 v[6:9], v100 offset:1440
	ds_read_b128 v[10:13], v100 offset:3744
	s_mul_i32 s0, s9, 0xffffb4a0
	s_sub_i32 s0, s0, s8
	s_waitcnt vmcnt(0) lgkmcnt(1)
	v_mul_f64 v[14:15], v[8:9], v[4:5]
	v_mul_f64 v[4:5], v[6:7], v[4:5]
	v_fma_f64 v[6:7], v[6:7], v[2:3], v[14:15]
	v_fma_f64 v[4:5], v[2:3], v[8:9], -v[4:5]
	v_mul_f64 v[2:3], v[6:7], s[2:3]
	v_mul_f64 v[4:5], v[4:5], s[2:3]
	v_mad_u64_u32 v[6:7], null, 0xffffb4a0, s8, v[0:1]
	v_add_nc_u32_e32 v7, s0, v7
	global_store_dwordx4 v[6:7], v[2:5], off
	s_clause 0x1
	buffer_load_dword v0, off, s[24:27], 0 offset:56
	buffer_load_dword v1, off, s[24:27], 0 offset:60
	s_waitcnt vmcnt(0)
	global_load_dwordx4 v[0:3], v[0:1], off offset:1696
	s_waitcnt vmcnt(0) lgkmcnt(0)
	v_mul_f64 v[4:5], v[12:13], v[2:3]
	v_mul_f64 v[2:3], v[10:11], v[2:3]
	v_fma_f64 v[4:5], v[10:11], v[0:1], v[4:5]
	v_fma_f64 v[2:3], v[0:1], v[12:13], -v[2:3]
	v_add_co_u32 v12, vcc_lo, v6, s4
	v_add_co_ci_u32_e32 v13, vcc_lo, s5, v7, vcc_lo
	v_mul_f64 v[0:1], v[4:5], s[2:3]
	v_mul_f64 v[2:3], v[2:3], s[2:3]
	global_store_dwordx4 v[12:13], v[0:3], off
	s_clause 0x1
	buffer_load_dword v0, off, s[24:27], 0 offset:48
	buffer_load_dword v1, off, s[24:27], 0 offset:52
	s_waitcnt vmcnt(0)
	global_load_dwordx4 v[0:3], v[0:1], off offset:1952
	ds_read_b128 v[4:7], v100 offset:6048
	ds_read_b128 v[8:11], v100 offset:8352
	s_waitcnt vmcnt(0) lgkmcnt(1)
	v_mul_f64 v[14:15], v[6:7], v[2:3]
	v_mul_f64 v[2:3], v[4:5], v[2:3]
	v_fma_f64 v[4:5], v[4:5], v[0:1], v[14:15]
	v_fma_f64 v[2:3], v[0:1], v[6:7], -v[2:3]
	v_mul_f64 v[0:1], v[4:5], s[2:3]
	v_mul_f64 v[2:3], v[2:3], s[2:3]
	v_add_co_u32 v4, vcc_lo, v12, s4
	v_add_co_ci_u32_e32 v5, vcc_lo, s5, v13, vcc_lo
	v_add_co_u32 v12, vcc_lo, v4, s4
	v_add_co_ci_u32_e32 v13, vcc_lo, s5, v5, vcc_lo
	global_store_dwordx4 v[4:5], v[0:3], off
	s_clause 0x1
	buffer_load_dword v0, off, s[24:27], 0 offset:40
	buffer_load_dword v1, off, s[24:27], 0 offset:44
	s_waitcnt vmcnt(0)
	global_load_dwordx4 v[0:3], v[0:1], off offset:160
	s_waitcnt vmcnt(0) lgkmcnt(0)
	v_mul_f64 v[6:7], v[10:11], v[2:3]
	v_mul_f64 v[2:3], v[8:9], v[2:3]
	v_fma_f64 v[6:7], v[8:9], v[0:1], v[6:7]
	v_fma_f64 v[2:3], v[0:1], v[10:11], -v[2:3]
	v_mul_f64 v[0:1], v[6:7], s[2:3]
	v_mul_f64 v[2:3], v[2:3], s[2:3]
	global_store_dwordx4 v[12:13], v[0:3], off
	s_clause 0x1
	buffer_load_dword v0, off, s[24:27], 0 offset:24
	buffer_load_dword v1, off, s[24:27], 0 offset:28
	s_waitcnt vmcnt(0)
	global_load_dwordx4 v[0:3], v[0:1], off offset:416
	ds_read_b128 v[4:7], v100 offset:10656
	ds_read_b128 v[8:11], v100 offset:12960
	s_waitcnt vmcnt(0) lgkmcnt(1)
	v_mul_f64 v[14:15], v[6:7], v[2:3]
	v_mul_f64 v[2:3], v[4:5], v[2:3]
	v_fma_f64 v[4:5], v[4:5], v[0:1], v[14:15]
	v_fma_f64 v[2:3], v[0:1], v[6:7], -v[2:3]
	v_mul_f64 v[0:1], v[4:5], s[2:3]
	v_mul_f64 v[2:3], v[2:3], s[2:3]
	v_add_co_u32 v4, vcc_lo, v12, s4
	v_add_co_ci_u32_e32 v5, vcc_lo, s5, v13, vcc_lo
	v_add_co_u32 v12, vcc_lo, v4, s4
	v_add_co_ci_u32_e32 v13, vcc_lo, s5, v5, vcc_lo
	global_store_dwordx4 v[4:5], v[0:3], off
	s_clause 0x1
	buffer_load_dword v0, off, s[24:27], 0 offset:16
	buffer_load_dword v1, off, s[24:27], 0 offset:20
	s_waitcnt vmcnt(0)
	global_load_dwordx4 v[0:3], v[0:1], off offset:672
	s_waitcnt vmcnt(0) lgkmcnt(0)
	v_mul_f64 v[6:7], v[10:11], v[2:3]
	v_mul_f64 v[2:3], v[8:9], v[2:3]
	v_fma_f64 v[6:7], v[8:9], v[0:1], v[6:7]
	v_fma_f64 v[2:3], v[0:1], v[10:11], -v[2:3]
	v_mul_f64 v[0:1], v[6:7], s[2:3]
	v_mul_f64 v[2:3], v[2:3], s[2:3]
	global_store_dwordx4 v[12:13], v[0:3], off
	s_clause 0x1
	buffer_load_dword v0, off, s[24:27], 0 offset:8
	buffer_load_dword v1, off, s[24:27], 0 offset:12
	s_waitcnt vmcnt(0)
	global_load_dwordx4 v[0:3], v[0:1], off offset:928
	ds_read_b128 v[4:7], v100 offset:15264
	ds_read_b128 v[8:11], v100 offset:17568
	s_waitcnt vmcnt(0) lgkmcnt(1)
	v_mul_f64 v[14:15], v[6:7], v[2:3]
	v_mul_f64 v[2:3], v[4:5], v[2:3]
	v_fma_f64 v[4:5], v[4:5], v[0:1], v[14:15]
	v_fma_f64 v[2:3], v[0:1], v[6:7], -v[2:3]
	v_mul_f64 v[0:1], v[4:5], s[2:3]
	v_mul_f64 v[2:3], v[2:3], s[2:3]
	v_add_co_u32 v4, vcc_lo, v12, s4
	v_add_co_ci_u32_e32 v5, vcc_lo, s5, v13, vcc_lo
	v_add_co_u32 v6, vcc_lo, 0x4000, v20
	v_add_co_ci_u32_e32 v7, vcc_lo, 0, v21, vcc_lo
	;; [unrolled: 2-line block ×3, first 2 shown]
	global_store_dwordx4 v[4:5], v[0:3], off
	global_load_dwordx4 v[0:3], v[6:7], off offset:1184
	v_add_co_u32 v4, vcc_lo, 0x4800, v20
	v_add_co_ci_u32_e32 v5, vcc_lo, 0, v21, vcc_lo
	s_waitcnt vmcnt(0) lgkmcnt(0)
	v_mul_f64 v[6:7], v[10:11], v[2:3]
	v_mul_f64 v[2:3], v[8:9], v[2:3]
	v_fma_f64 v[6:7], v[8:9], v[0:1], v[6:7]
	v_fma_f64 v[2:3], v[0:1], v[10:11], -v[2:3]
	v_mul_f64 v[0:1], v[6:7], s[2:3]
	v_mul_f64 v[2:3], v[2:3], s[2:3]
	global_store_dwordx4 v[12:13], v[0:3], off
	global_load_dwordx4 v[0:3], v[4:5], off offset:1440
	ds_read_b128 v[4:7], v100 offset:19872
	ds_read_b128 v[8:11], v100 offset:22176
	s_waitcnt vmcnt(0) lgkmcnt(1)
	v_mul_f64 v[14:15], v[6:7], v[2:3]
	v_mul_f64 v[2:3], v[4:5], v[2:3]
	v_fma_f64 v[4:5], v[4:5], v[0:1], v[14:15]
	v_fma_f64 v[2:3], v[0:1], v[6:7], -v[2:3]
	v_mul_f64 v[0:1], v[4:5], s[2:3]
	v_mul_f64 v[2:3], v[2:3], s[2:3]
	v_add_co_u32 v4, vcc_lo, v12, s4
	v_add_co_ci_u32_e32 v5, vcc_lo, s5, v13, vcc_lo
	global_store_dwordx4 v[4:5], v[0:3], off
	s_clause 0x1
	buffer_load_dword v0, off, s[24:27], 0
	buffer_load_dword v1, off, s[24:27], 0 offset:4
	v_add_co_u32 v4, vcc_lo, v4, s4
	v_add_co_ci_u32_e32 v5, vcc_lo, s5, v5, vcc_lo
	s_waitcnt vmcnt(0)
	global_load_dwordx4 v[0:3], v[0:1], off offset:1696
	s_waitcnt vmcnt(0) lgkmcnt(0)
	v_mul_f64 v[6:7], v[10:11], v[2:3]
	v_mul_f64 v[2:3], v[8:9], v[2:3]
	v_fma_f64 v[6:7], v[8:9], v[0:1], v[6:7]
	v_fma_f64 v[2:3], v[0:1], v[10:11], -v[2:3]
	v_mul_f64 v[0:1], v[6:7], s[2:3]
	v_mul_f64 v[2:3], v[2:3], s[2:3]
	global_store_dwordx4 v[4:5], v[0:3], off
.LBB0_31:
	s_endpgm
	.section	.rodata,"a",@progbits
	.p2align	6, 0x0
	.amdhsa_kernel bluestein_single_back_len1440_dim1_dp_op_CI_CI
		.amdhsa_group_segment_fixed_size 23040
		.amdhsa_private_segment_fixed_size 476
		.amdhsa_kernarg_size 104
		.amdhsa_user_sgpr_count 6
		.amdhsa_user_sgpr_private_segment_buffer 1
		.amdhsa_user_sgpr_dispatch_ptr 0
		.amdhsa_user_sgpr_queue_ptr 0
		.amdhsa_user_sgpr_kernarg_segment_ptr 1
		.amdhsa_user_sgpr_dispatch_id 0
		.amdhsa_user_sgpr_flat_scratch_init 0
		.amdhsa_user_sgpr_private_segment_size 0
		.amdhsa_wavefront_size32 1
		.amdhsa_uses_dynamic_stack 0
		.amdhsa_system_sgpr_private_segment_wavefront_offset 1
		.amdhsa_system_sgpr_workgroup_id_x 1
		.amdhsa_system_sgpr_workgroup_id_y 0
		.amdhsa_system_sgpr_workgroup_id_z 0
		.amdhsa_system_sgpr_workgroup_info 0
		.amdhsa_system_vgpr_workitem_id 0
		.amdhsa_next_free_vgpr 256
		.amdhsa_next_free_sgpr 28
		.amdhsa_reserve_vcc 1
		.amdhsa_reserve_flat_scratch 0
		.amdhsa_float_round_mode_32 0
		.amdhsa_float_round_mode_16_64 0
		.amdhsa_float_denorm_mode_32 3
		.amdhsa_float_denorm_mode_16_64 3
		.amdhsa_dx10_clamp 1
		.amdhsa_ieee_mode 1
		.amdhsa_fp16_overflow 0
		.amdhsa_workgroup_processor_mode 1
		.amdhsa_memory_ordered 1
		.amdhsa_forward_progress 0
		.amdhsa_shared_vgpr_count 0
		.amdhsa_exception_fp_ieee_invalid_op 0
		.amdhsa_exception_fp_denorm_src 0
		.amdhsa_exception_fp_ieee_div_zero 0
		.amdhsa_exception_fp_ieee_overflow 0
		.amdhsa_exception_fp_ieee_underflow 0
		.amdhsa_exception_fp_ieee_inexact 0
		.amdhsa_exception_int_div_zero 0
	.end_amdhsa_kernel
	.text
.Lfunc_end0:
	.size	bluestein_single_back_len1440_dim1_dp_op_CI_CI, .Lfunc_end0-bluestein_single_back_len1440_dim1_dp_op_CI_CI
                                        ; -- End function
	.section	.AMDGPU.csdata,"",@progbits
; Kernel info:
; codeLenInByte = 25076
; NumSgprs: 30
; NumVgprs: 256
; ScratchSize: 476
; MemoryBound: 0
; FloatMode: 240
; IeeeMode: 1
; LDSByteSize: 23040 bytes/workgroup (compile time only)
; SGPRBlocks: 3
; VGPRBlocks: 31
; NumSGPRsForWavesPerEU: 30
; NumVGPRsForWavesPerEU: 256
; Occupancy: 4
; WaveLimiterHint : 1
; COMPUTE_PGM_RSRC2:SCRATCH_EN: 1
; COMPUTE_PGM_RSRC2:USER_SGPR: 6
; COMPUTE_PGM_RSRC2:TRAP_HANDLER: 0
; COMPUTE_PGM_RSRC2:TGID_X_EN: 1
; COMPUTE_PGM_RSRC2:TGID_Y_EN: 0
; COMPUTE_PGM_RSRC2:TGID_Z_EN: 0
; COMPUTE_PGM_RSRC2:TIDIG_COMP_CNT: 0
	.text
	.p2alignl 6, 3214868480
	.fill 48, 4, 3214868480
	.type	__hip_cuid_db35aa6de68e1cc3,@object ; @__hip_cuid_db35aa6de68e1cc3
	.section	.bss,"aw",@nobits
	.globl	__hip_cuid_db35aa6de68e1cc3
__hip_cuid_db35aa6de68e1cc3:
	.byte	0                               ; 0x0
	.size	__hip_cuid_db35aa6de68e1cc3, 1

	.ident	"AMD clang version 19.0.0git (https://github.com/RadeonOpenCompute/llvm-project roc-6.4.0 25133 c7fe45cf4b819c5991fe208aaa96edf142730f1d)"
	.section	".note.GNU-stack","",@progbits
	.addrsig
	.addrsig_sym __hip_cuid_db35aa6de68e1cc3
	.amdgpu_metadata
---
amdhsa.kernels:
  - .args:
      - .actual_access:  read_only
        .address_space:  global
        .offset:         0
        .size:           8
        .value_kind:     global_buffer
      - .actual_access:  read_only
        .address_space:  global
        .offset:         8
        .size:           8
        .value_kind:     global_buffer
      - .actual_access:  read_only
        .address_space:  global
        .offset:         16
        .size:           8
        .value_kind:     global_buffer
      - .actual_access:  read_only
        .address_space:  global
        .offset:         24
        .size:           8
        .value_kind:     global_buffer
      - .actual_access:  read_only
        .address_space:  global
        .offset:         32
        .size:           8
        .value_kind:     global_buffer
      - .offset:         40
        .size:           8
        .value_kind:     by_value
      - .address_space:  global
        .offset:         48
        .size:           8
        .value_kind:     global_buffer
      - .address_space:  global
        .offset:         56
        .size:           8
        .value_kind:     global_buffer
      - .address_space:  global
        .offset:         64
        .size:           8
        .value_kind:     global_buffer
      - .address_space:  global
        .offset:         72
        .size:           8
        .value_kind:     global_buffer
      - .offset:         80
        .size:           4
        .value_kind:     by_value
      - .address_space:  global
        .offset:         88
        .size:           8
        .value_kind:     global_buffer
      - .address_space:  global
        .offset:         96
        .size:           8
        .value_kind:     global_buffer
    .group_segment_fixed_size: 23040
    .kernarg_segment_align: 8
    .kernarg_segment_size: 104
    .language:       OpenCL C
    .language_version:
      - 2
      - 0
    .max_flat_workgroup_size: 90
    .name:           bluestein_single_back_len1440_dim1_dp_op_CI_CI
    .private_segment_fixed_size: 476
    .sgpr_count:     30
    .sgpr_spill_count: 0
    .symbol:         bluestein_single_back_len1440_dim1_dp_op_CI_CI.kd
    .uniform_work_group_size: 1
    .uses_dynamic_stack: false
    .vgpr_count:     256
    .vgpr_spill_count: 118
    .wavefront_size: 32
    .workgroup_processor_mode: 1
amdhsa.target:   amdgcn-amd-amdhsa--gfx1030
amdhsa.version:
  - 1
  - 2
...

	.end_amdgpu_metadata
